;; amdgpu-corpus repo=ROCm/rocFFT kind=compiled arch=gfx950 opt=O3
	.text
	.amdgcn_target "amdgcn-amd-amdhsa--gfx950"
	.amdhsa_code_object_version 6
	.protected	fft_rtc_back_len4096_factors_8_16_4_8_wgs_256_tpt_128_halfLds_dim2_sp_ip_CI_unitstride_sbrr_dirReg ; -- Begin function fft_rtc_back_len4096_factors_8_16_4_8_wgs_256_tpt_128_halfLds_dim2_sp_ip_CI_unitstride_sbrr_dirReg
	.globl	fft_rtc_back_len4096_factors_8_16_4_8_wgs_256_tpt_128_halfLds_dim2_sp_ip_CI_unitstride_sbrr_dirReg
	.p2align	8
	.type	fft_rtc_back_len4096_factors_8_16_4_8_wgs_256_tpt_128_halfLds_dim2_sp_ip_CI_unitstride_sbrr_dirReg,@function
fft_rtc_back_len4096_factors_8_16_4_8_wgs_256_tpt_128_halfLds_dim2_sp_ip_CI_unitstride_sbrr_dirReg: ; @fft_rtc_back_len4096_factors_8_16_4_8_wgs_256_tpt_128_halfLds_dim2_sp_ip_CI_unitstride_sbrr_dirReg
; %bb.0:
	s_load_dwordx4 s[4:7], s[0:1], 0x8
	v_lshrrev_b32_e32 v26, 7, v0
	v_mov_b32_e32 v3, 0
	v_lshl_or_b32 v2, s2, 1, v26
	v_mov_b64_e32 v[6:7], 0
	s_waitcnt lgkmcnt(0)
	s_load_dwordx2 s[10:11], s[4:5], 0x8
	s_load_dwordx2 s[8:9], s[6:7], 0x8
	s_waitcnt lgkmcnt(0)
	v_cmp_le_u64_e32 vcc, s[10:11], v[2:3]
	s_and_saveexec_b64 s[2:3], vcc
	s_cbranch_execz .LBB0_2
; %bb.1:
	v_cvt_f32_u32_e32 v1, s10
	s_sub_i32 s4, 0, s10
	v_mov_b32_e32 v7, v3
	v_rcp_iflag_f32_e32 v1, v1
	s_nop 0
	v_mul_f32_e32 v1, 0x4f7ffffe, v1
	v_cvt_u32_f32_e32 v1, v1
	v_mul_lo_u32 v4, s4, v1
	v_mul_hi_u32 v4, v1, v4
	v_add_u32_e32 v1, v1, v4
	v_mul_hi_u32 v1, v2, v1
	v_mul_lo_u32 v4, v1, s10
	v_sub_u32_e32 v4, v2, v4
	v_add_u32_e32 v5, 1, v1
	v_subrev_u32_e32 v6, s10, v4
	v_cmp_le_u32_e32 vcc, s10, v4
	s_nop 1
	v_cndmask_b32_e32 v4, v4, v6, vcc
	v_cndmask_b32_e32 v1, v1, v5, vcc
	v_add_u32_e32 v5, 1, v1
	v_cmp_le_u32_e32 vcc, s10, v4
	s_nop 1
	v_cndmask_b32_e32 v6, v1, v5, vcc
.LBB0_2:
	s_or_b64 exec, exec, s[2:3]
	s_load_dwordx2 s[2:3], s[0:1], 0x0
	s_load_dwordx2 s[4:5], s[0:1], 0x48
	s_load_dwordx2 s[12:13], s[0:1], 0x18
	v_mad_u64_u32 v[4:5], s[0:1], v6, s10, 0
	v_mov_b32_e32 v8, v5
	v_mad_u64_u32 v[8:9], s[0:1], v6, s11, v[8:9]
	s_load_dwordx2 s[0:1], s[6:7], 0x10
	v_mov_b32_e32 v1, v8
	v_sub_co_u32_e32 v2, vcc, v2, v4
	v_mul_lo_u32 v4, s9, v2
	s_nop 0
	v_subb_co_u32_e32 v1, vcc, 0, v1, vcc
	v_mul_lo_u32 v1, s8, v1
	v_mad_u64_u32 v[2:3], s[6:7], s8, v2, 0
	v_add3_u32 v3, v3, v1, v4
	s_waitcnt lgkmcnt(0)
	v_mad_u64_u32 v[2:3], s[6:7], s0, v6, v[2:3]
	v_mov_b32_e32 v4, v3
	v_mad_u64_u32 v[4:5], s[0:1], s1, v6, v[4:5]
	v_cmp_gt_u64_e32 vcc, s[12:13], v[6:7]
	v_cmp_le_u64_e64 s[0:1], s[12:13], v[6:7]
	v_and_b32_e32 v1, 0x7f, v0
                                        ; implicit-def: $sgpr6_sgpr7
                                        ; implicit-def: $vgpr94
                                        ; implicit-def: $vgpr21
                                        ; implicit-def: $vgpr80
                                        ; implicit-def: $vgpr81
                                        ; implicit-def: $vgpr88
                                        ; implicit-def: $vgpr96
                                        ; implicit-def: $vgpr103
                                        ; implicit-def: $vgpr82
                                        ; implicit-def: $vgpr89
                                        ; implicit-def: $vgpr97
                                        ; implicit-def: $vgpr104
                                        ; implicit-def: $vgpr83
                                        ; implicit-def: $vgpr90
                                        ; implicit-def: $vgpr98
                                        ; implicit-def: $vgpr105
                                        ; implicit-def: $vgpr84
                                        ; implicit-def: $vgpr91
                                        ; implicit-def: $vgpr99
                                        ; implicit-def: $vgpr106
                                        ; implicit-def: $vgpr85
                                        ; implicit-def: $vgpr92
                                        ; implicit-def: $vgpr100
                                        ; implicit-def: $vgpr107
                                        ; implicit-def: $vgpr86
                                        ; implicit-def: $vgpr93
                                        ; implicit-def: $vgpr101
                                        ; implicit-def: $vgpr108
                                        ; implicit-def: $vgpr87
                                        ; implicit-def: $vgpr95
                                        ; implicit-def: $vgpr102
                                        ; implicit-def: $vgpr109
	s_and_saveexec_b64 s[8:9], s[0:1]
	s_xor_b64 s[0:1], exec, s[8:9]
	s_cbranch_execz .LBB0_4
; %bb.3:
	v_or_b32_e32 v94, 0x80, v1
	v_or_b32_e32 v21, 0x100, v1
	;; [unrolled: 1-line block ×31, first 2 shown]
	s_mov_b64 s[6:7], 0
.LBB0_4:
	s_or_saveexec_b64 s[0:1], s[0:1]
	v_mov_b32_e32 v3, v4
	v_mov_b64_e32 v[8:9], s[6:7]
	v_lshl_add_u64 v[18:19], v[2:3], 3, s[4:5]
	v_lshlrev_b32_e32 v20, 3, v1
	v_mov_b64_e32 v[2:3], s[6:7]
	v_mov_b64_e32 v[42:43], s[6:7]
	;; [unrolled: 1-line block ×15, first 2 shown]
                                        ; implicit-def: $vgpr4
                                        ; implicit-def: $vgpr48
                                        ; implicit-def: $vgpr27
                                        ; implicit-def: $vgpr7
                                        ; implicit-def: $vgpr56
                                        ; implicit-def: $vgpr16
                                        ; implicit-def: $vgpr68
                                        ; implicit-def: $vgpr79
                                        ; implicit-def: $vgpr51
                                        ; implicit-def: $vgpr34
                                        ; implicit-def: $vgpr74
                                        ; implicit-def: $vgpr71
                                        ; implicit-def: $vgpr37
                                        ; implicit-def: $vgpr76
                                        ; implicit-def: $vgpr28
                                        ; implicit-def: $vgpr62
                                        ; implicit-def: $vgpr53
                                        ; implicit-def: $vgpr33
                                        ; implicit-def: $vgpr64
                                        ; implicit-def: $vgpr72
	s_xor_b64 exec, exec, s[0:1]
	s_cbranch_execz .LBB0_6
; %bb.5:
	v_mov_b32_e32 v21, 0
	v_or_b32_e32 v81, 0x200, v1
	v_lshlrev_b32_e32 v2, 3, v81
	v_mov_b32_e32 v3, v21
	v_or_b32_e32 v82, 0x400, v1
	v_lshl_add_u64 v[6:7], v[18:19], 0, v[2:3]
	v_lshlrev_b32_e32 v2, 3, v82
	v_or_b32_e32 v83, 0x600, v1
	v_lshl_add_u64 v[8:9], v[18:19], 0, v[2:3]
	v_lshlrev_b32_e32 v2, 3, v83
	v_or_b32_e32 v84, 0x800, v1
	v_lshl_add_u64 v[10:11], v[18:19], 0, v[2:3]
	v_lshlrev_b32_e32 v2, 3, v84
	v_or_b32_e32 v85, 0xa00, v1
	v_lshl_add_u64 v[14:15], v[18:19], 0, v[2:3]
	global_load_dwordx2 v[42:43], v[6:7], off
	global_load_dwordx2 v[2:3], v[8:9], off
	;; [unrolled: 1-line block ×4, first 2 shown]
	v_lshlrev_b32_e32 v6, 3, v85
	v_mov_b32_e32 v7, v21
	v_or_b32_e32 v86, 0xc00, v1
	v_lshl_add_u64 v[8:9], v[18:19], 0, v[6:7]
	v_lshlrev_b32_e32 v6, 3, v86
	v_or_b32_e32 v87, 0xe00, v1
	v_lshl_add_u64 v[10:11], v[18:19], 0, v[6:7]
	v_lshlrev_b32_e32 v6, 3, v87
	;; [unrolled: 3-line block ×3, first 2 shown]
	v_or_b32_e32 v89, 0x480, v1
	v_or_b32_e32 v91, 0x880, v1
	v_lshl_add_u64 v[16:17], v[18:19], 0, v[6:7]
	global_load_dwordx2 v[48:49], v[8:9], off
	global_load_dwordx2 v[6:7], v[10:11], off
	;; [unrolled: 1-line block ×4, first 2 shown]
	v_lshlrev_b32_e32 v8, 3, v89
	v_mov_b32_e32 v9, v21
	v_or_b32_e32 v90, 0x680, v1
	v_lshlrev_b32_e32 v14, 3, v91
	v_mov_b32_e32 v15, v21
	v_or_b32_e32 v92, 0xa80, v1
	v_lshl_add_u64 v[8:9], v[18:19], 0, v[8:9]
	v_lshlrev_b32_e32 v10, 3, v90
	v_mov_b32_e32 v11, v21
	v_lshl_add_u64 v[14:15], v[18:19], 0, v[14:15]
	v_lshlrev_b32_e32 v16, 3, v92
	v_mov_b32_e32 v17, v21
	v_or_b32_e32 v93, 0xc80, v1
	v_or_b32_e32 v96, 0x300, v1
	v_lshl_add_u64 v[10:11], v[18:19], 0, v[10:11]
	v_lshl_add_u64 v[22:23], v[18:19], 0, v[16:17]
	global_load_dwordx2 v[30:31], v[8:9], off
	global_load_dwordx2 v[54:55], v[10:11], off
	;; [unrolled: 1-line block ×4, first 2 shown]
	v_lshlrev_b32_e32 v8, 3, v93
	v_mov_b32_e32 v9, v21
	v_or_b32_e32 v95, 0xe80, v1
	v_lshlrev_b32_e32 v14, 3, v96
	v_mov_b32_e32 v15, v21
	v_or_b32_e32 v97, 0x500, v1
	v_lshl_add_u64 v[8:9], v[18:19], 0, v[8:9]
	v_lshlrev_b32_e32 v10, 3, v95
	v_mov_b32_e32 v11, v21
	v_lshl_add_u64 v[22:23], v[18:19], 0, v[14:15]
	v_lshlrev_b32_e32 v14, 3, v97
	v_or_b32_e32 v98, 0x700, v1
	v_lshl_add_u64 v[10:11], v[18:19], 0, v[10:11]
	v_lshl_add_u64 v[24:25], v[18:19], 0, v[14:15]
	global_load_dwordx2 v[50:51], v[8:9], off
	global_load_dwordx2 v[72:73], v[10:11], off
	;; [unrolled: 1-line block ×4, first 2 shown]
	v_lshlrev_b32_e32 v8, 3, v98
	v_mov_b32_e32 v9, v21
	v_or_b32_e32 v99, 0x900, v1
	v_or_b32_e32 v100, 0xb00, v1
	;; [unrolled: 1-line block ×3, first 2 shown]
	v_lshl_add_u64 v[8:9], v[18:19], 0, v[8:9]
	v_lshlrev_b32_e32 v10, 3, v99
	v_mov_b32_e32 v11, v21
	v_lshlrev_b32_e32 v22, 3, v100
	v_mov_b32_e32 v23, v21
	;; [unrolled: 2-line block ×3, first 2 shown]
	v_or_b32_e32 v102, 0xf00, v1
	v_lshl_add_u64 v[12:13], v[18:19], 0, v[20:21]
	v_lshl_add_u64 v[10:11], v[18:19], 0, v[10:11]
	;; [unrolled: 1-line block ×4, first 2 shown]
	global_load_dwordx2 v[66:67], v[8:9], off
	global_load_dwordx2 v[34:35], v[10:11], off
	;; [unrolled: 1-line block ×4, first 2 shown]
	v_lshlrev_b32_e32 v8, 3, v102
	v_mov_b32_e32 v9, v21
	v_or_b32_e32 v103, 0x380, v0
	v_lshl_add_u64 v[28:29], v[18:19], 0, v[8:9]
	global_load_dwordx2 v[8:9], v[12:13], off
	global_load_dwordx2 v[24:25], v[12:13], off offset:1024
	global_load_dwordx2 v[22:23], v[12:13], off offset:2048
	;; [unrolled: 1-line block ×3, first 2 shown]
	v_lshlrev_b32_e32 v12, 3, v103
	v_mov_b32_e32 v13, v21
	v_or_b32_e32 v104, 0x580, v1
	v_lshl_add_u64 v[32:33], v[18:19], 0, v[12:13]
	v_lshlrev_b32_e32 v12, 3, v104
	v_or_b32_e32 v105, 0x780, v0
	v_lshl_add_u64 v[52:53], v[18:19], 0, v[12:13]
	v_lshlrev_b32_e32 v12, 3, v105
	v_or_b32_e32 v106, 0x980, v1
	v_lshl_add_u64 v[58:59], v[18:19], 0, v[12:13]
	global_load_dwordx2 v[76:77], v[28:29], off
	global_load_dwordx2 v[38:39], v[32:33], off
	;; [unrolled: 1-line block ×4, first 2 shown]
	v_lshlrev_b32_e32 v28, 3, v106
	v_mov_b32_e32 v29, v21
	v_or_b32_e32 v107, 0xb80, v0
	v_lshl_add_u64 v[52:53], v[18:19], 0, v[28:29]
	v_lshlrev_b32_e32 v28, 3, v107
	v_or_b32_e32 v108, 0xd80, v1
	v_lshl_add_u64 v[58:59], v[18:19], 0, v[28:29]
	v_lshlrev_b32_e32 v28, 3, v108
	;; [unrolled: 3-line block ×3, first 2 shown]
	v_lshl_add_u64 v[78:79], v[18:19], 0, v[28:29]
	global_load_dwordx2 v[28:29], v[52:53], off
	global_load_dwordx2 v[62:63], v[58:59], off
	;; [unrolled: 1-line block ×4, first 2 shown]
	v_or_b32_e32 v94, 0x80, v1
	v_or_b32_e32 v21, 0x100, v1
	;; [unrolled: 1-line block ×3, first 2 shown]
	s_waitcnt vmcnt(26)
	v_mov_b32_e32 v27, v6
	s_waitcnt vmcnt(19)
	v_mov_b32_e32 v79, v50
	;; [unrolled: 2-line block ×4, first 2 shown]
.LBB0_6:
	s_or_b64 exec, exec, s[0:1]
	v_sub_f32_e32 v6, v42, v48
	v_sub_f32_e32 v36, v43, v49
	;; [unrolled: 1-line block ×4, first 2 shown]
	v_fma_f32 v43, v43, 2.0, -v36
	v_fma_f32 v41, v41, 2.0, -v50
	v_add_f32_e32 v118, v6, v50
	v_sub_f32_e32 v119, v36, v49
	v_fma_f32 v42, v42, 2.0, -v6
	v_fma_f32 v40, v40, 2.0, -v49
	v_sub_f32_e32 v48, v43, v41
	v_fma_f32 v120, v6, 2.0, -v118
	v_fma_f32 v121, v36, 2.0, -v119
	v_sub_f32_e32 v6, v44, v68
	v_sub_f32_e32 v36, v45, v69
	;; [unrolled: 1-line block ×4, first 2 shown]
	v_fma_f32 v56, v43, 2.0, -v48
	v_fma_f32 v43, v44, 2.0, -v6
	;; [unrolled: 1-line block ×3, first 2 shown]
	v_sub_f32_e32 v45, v54, v72
	v_fma_f32 v52, v55, 2.0, -v50
	v_fma_f32 v58, v42, 2.0, -v40
	v_add_f32_e32 v110, v31, v31
	v_fma_f32 v42, v54, 2.0, -v45
	v_sub_f32_e32 v68, v44, v52
	v_add_f32_e32 v52, v6, v50
	v_sub_f32_e32 v55, v36, v45
	v_sub_f32_e32 v45, v60, v74
	;; [unrolled: 1-line block ×5, first 2 shown]
	v_mov_b32_e32 v111, v30
	v_sub_f32_e32 v78, v31, v51
	v_fma_f32 v54, v60, 2.0, -v45
	v_fma_f32 v60, v67, 2.0, -v76
	v_add_f32_e32 v122, v45, v76
	v_sub_f32_e32 v123, v50, v75
	v_sub_f32_e32 v51, v24, v16
	v_pk_add_f32 v[76:77], v[110:111], v[78:79] neg_lo:[0,1] neg_hi:[0,1]
	v_fma_f32 v61, v61, 2.0, -v50
	v_fma_f32 v125, v50, 2.0, -v123
	;; [unrolled: 1-line block ×4, first 2 shown]
	v_mov_b32_e32 v31, v78
	v_fma_f32 v112, v44, 2.0, -v68
	v_fma_f32 v44, v66, 2.0, -v75
	v_pk_add_f32 v[66:67], v[50:51], v[30:31] neg_lo:[0,1] neg_hi:[0,1]
	v_pk_add_f32 v[30:31], v[50:51], v[30:31]
	v_mul_f32_e32 v69, 0x3f3504f3, v55
	v_mov_b32_e32 v67, v31
	v_fmac_f32_e32 v31, 0x3f3504f3, v52
	v_mov_b32_e32 v30, v66
	v_sub_f32_e32 v42, v43, v42
	v_fma_f32 v6, v6, 2.0, -v52
	v_fma_f32 v70, v36, 2.0, -v55
	v_pk_add_f32 v[68:69], v[30:31], v[68:69]
	v_pk_fma_f32 v[30:31], v[50:51], 2.0, v[66:67] op_sel_hi:[1,0,1] neg_lo:[0,0,1] neg_hi:[0,0,1]
	v_fma_f32 v72, v43, 2.0, -v42
	v_mul_f32_e32 v73, 0x3f3504f3, v70
	v_fmamk_f32 v51, v6, 0xbf3504f3, v31
	v_mov_b32_e32 v50, v30
	v_sub_f32_e32 v44, v54, v44
	v_lshlrev_b32_e32 v26, 14, v26
	v_pk_add_f32 v[50:51], v[50:51], v[72:73]
	v_pk_add_f32 v[72:73], v[30:31], v[72:73] neg_lo:[0,1] neg_hi:[0,1]
	v_fma_f32 v74, v54, 2.0, -v44
	v_add_u32_e32 v54, 0, v26
	v_mov_b32_e32 v73, v51
	v_mul_f32_e32 v113, 0x3f3504f3, v6
	v_lshl_add_u32 v111, v94, 5, v54
	v_pk_fma_f32 v[30:31], v[30:31], 2.0, v[72:73] op_sel_hi:[1,0,1] neg_lo:[0,0,1] neg_hi:[0,0,1]
	v_pk_fma_f32 v[66:67], v[66:67], 2.0, v[68:69] op_sel_hi:[1,0,1] neg_lo:[0,0,1] neg_hi:[0,0,1]
	v_sub_f32_e32 v6, v38, v62
	v_sub_f32_e32 v24, v39, v63
	ds_write2_b64 v111, v[30:31], v[66:67] offset1:1
	v_fma_f32 v31, v38, 2.0, -v6
	v_fma_f32 v38, v39, 2.0, -v24
	s_waitcnt vmcnt(0)
	v_sub_f32_e32 v39, v46, v64
	v_sub_f32_e32 v50, v47, v65
	v_fma_f32 v30, v46, 2.0, -v39
	v_fma_f32 v46, v47, 2.0, -v50
	v_sub_f32_e32 v47, v25, v17
	v_sub_f32_e32 v64, v38, v46
	v_fma_f32 v46, v25, 2.0, -v47
	v_fma_f32 v116, v38, 2.0, -v64
	v_sub_f32_e32 v62, v24, v39
	v_pk_add_f32 v[38:39], v[46:47], v[76:77] neg_lo:[0,1] neg_hi:[0,1]
	v_add_f32_e32 v36, v15, v15
	v_pk_fma_f32 v[46:47], v[46:47], 2.0, v[38:39] op_sel_hi:[1,0,1] neg_lo:[0,0,1] neg_hi:[0,0,1]
	ds_write2_b64 v111, v[72:73], v[68:69] offset0:2 offset1:3
	v_fmamk_f32 v25, v70, 0xbf3504f3, v47
	v_sub_f32_e32 v69, v23, v35
	v_sub_f32_e32 v70, v15, v37
	v_mov_b32_e32 v37, v14
	v_fma_f32 v68, v23, 2.0, -v69
	v_sub_f32_e32 v23, v22, v34
	v_pk_add_f32 v[36:37], v[36:37], v[70:71] neg_lo:[0,1] neg_hi:[0,1]
	v_fma_f32 v22, v22, 2.0, -v23
	v_fma_f32 v14, v14, 2.0, -v37
	v_mov_b32_e32 v15, v70
	v_pk_add_f32 v[70:71], v[22:23], v[14:15] neg_lo:[0,1] neg_hi:[0,1]
	v_pk_add_f32 v[14:15], v[22:23], v[14:15]
	v_fma_f32 v126, v24, 2.0, -v62
	v_lshlrev_b32_e32 v24, 2, v1
	v_mov_b32_e32 v71, v15
	v_fma_f32 v124, v45, 2.0, -v122
	v_add_u32_e32 v66, v54, v24
	v_add3_u32 v63, 0, v24, v26
	v_mov_b32_e32 v24, v46
	v_pk_fma_f32 v[22:23], v[22:23], 2.0, v[70:71] op_sel_hi:[1,0,1] neg_lo:[0,0,1] neg_hi:[0,0,1]
	v_sub_f32_e32 v60, v61, v60
	v_mul_f32_e32 v75, 0x3f3504f3, v125
	v_pk_add_f32 v[24:25], v[24:25], v[112:113] neg_lo:[0,1] neg_hi:[0,1]
	v_fmamk_f32 v113, v124, 0xbf3504f3, v23
	v_mov_b32_e32 v112, v22
	v_fma_f32 v114, v61, 2.0, -v60
	v_mul_f32_e32 v61, 0x3f3504f3, v123
	v_fmac_f32_e32 v15, 0x3f3504f3, v122
	v_pk_add_f32 v[112:113], v[112:113], v[74:75]
	v_pk_add_f32 v[74:75], v[22:23], v[74:75] neg_lo:[0,1] neg_hi:[0,1]
	v_mov_b32_e32 v14, v70
	v_mov_b32_e32 v75, v113
	v_pk_add_f32 v[14:15], v[14:15], v[60:61]
	v_mul_f32_e32 v43, 0x3f3504f3, v52
	v_add_f32_e32 v16, v13, v13
	v_lshl_add_u32 v128, v21, 5, v54
	v_sub_f32_e32 v73, v11, v29
	v_mov_b32_e32 v17, v12
	v_pk_fma_f32 v[22:23], v[22:23], 2.0, v[74:75] op_sel_hi:[1,0,1] neg_lo:[0,0,1] neg_hi:[0,0,1]
	v_pk_fma_f32 v[70:71], v[70:71], 2.0, v[14:15] op_sel_hi:[1,0,1] neg_lo:[0,0,1] neg_hi:[0,0,1]
	v_sub_f32_e32 v52, v13, v33
	v_fma_f32 v72, v11, 2.0, -v73
	ds_write2_b64 v128, v[22:23], v[70:71] offset1:1
	ds_write2_b64 v128, v[74:75], v[14:15] offset0:2 offset1:3
	v_sub_f32_e32 v11, v10, v28
	v_pk_add_f32 v[14:15], v[16:17], v[52:53] neg_lo:[0,1] neg_hi:[0,1]
	v_fma_f32 v10, v10, 2.0, -v11
	v_fma_f32 v12, v12, 2.0, -v15
	v_mov_b32_e32 v13, v52
	v_pk_add_f32 v[16:17], v[10:11], v[12:13] neg_lo:[0,1] neg_hi:[0,1]
	v_pk_add_f32 v[12:13], v[10:11], v[12:13]
	v_add_f32_e32 v50, v6, v50
	v_mov_b32_e32 v17, v13
	v_sub_f32_e32 v30, v31, v30
	v_fma_f32 v6, v6, 2.0, -v50
	v_pk_fma_f32 v[10:11], v[10:11], 2.0, v[16:17] op_sel_hi:[1,0,1] neg_lo:[0,0,1] neg_hi:[0,0,1]
	v_pk_add_f32 v[52:53], v[72:73], v[14:15] neg_lo:[0,1] neg_hi:[0,1]
	v_fma_f32 v78, v31, 2.0, -v30
	v_mul_f32_e32 v79, 0x3f3504f3, v126
	v_fmamk_f32 v23, v6, 0xbf3504f3, v11
	v_mov_b32_e32 v22, v10
	v_pk_fma_f32 v[14:15], v[72:73], 2.0, v[52:53] op_sel_hi:[1,0,1] neg_lo:[0,0,1] neg_hi:[0,0,1]
	v_mul_f32_e32 v117, 0x3f3504f3, v6
	v_mul_f32_e32 v65, 0x3f3504f3, v62
	v_fmac_f32_e32 v13, 0x3f3504f3, v50
	v_pk_add_f32 v[28:29], v[10:11], v[78:79] neg_lo:[0,1] neg_hi:[0,1]
	v_pk_add_f32 v[22:23], v[22:23], v[78:79]
	v_fmamk_f32 v71, v126, 0xbf3504f3, v15
	v_mov_b32_e32 v70, v14
	v_mov_b32_e32 v12, v16
	;; [unrolled: 1-line block ×3, first 2 shown]
	v_pk_add_f32 v[70:71], v[70:71], v[116:117] neg_lo:[0,1] neg_hi:[0,1]
	v_pk_add_f32 v[12:13], v[12:13], v[64:65]
	v_add_f32_e32 v32, v3, v3
	v_lshl_add_u32 v129, v80, 5, v54
	v_pk_fma_f32 v[10:11], v[10:11], 2.0, v[28:29] op_sel_hi:[1,0,1] neg_lo:[0,0,1] neg_hi:[0,0,1]
	v_pk_fma_f32 v[72:73], v[14:15], 2.0, v[70:71] op_sel_hi:[1,0,1] neg_lo:[0,0,1] neg_hi:[0,0,1]
	;; [unrolled: 1-line block ×3, first 2 shown]
	v_mov_b32_e32 v33, v2
	v_sub_f32_e32 v26, v3, v7
	ds_write2_b64 v129, v[10:11], v[14:15] offset1:1
	ds_write2_b64 v129, v[28:29], v[12:13] offset0:2 offset1:3
	v_sub_f32_e32 v11, v9, v5
	v_sub_f32_e32 v5, v8, v4
	v_pk_add_f32 v[6:7], v[32:33], v[26:27] neg_lo:[0,1] neg_hi:[0,1]
	v_fma_f32 v4, v8, 2.0, -v5
	v_fma_f32 v2, v2, 2.0, -v7
	v_mov_b32_e32 v3, v26
	v_fma_f32 v10, v9, 2.0, -v11
	v_pk_add_f32 v[8:9], v[4:5], v[2:3] neg_lo:[0,1] neg_hi:[0,1]
	v_pk_add_f32 v[2:3], v[4:5], v[2:3]
	v_mul_f32_e32 v59, 0x3f3504f3, v121
	v_mov_b32_e32 v9, v3
	v_pk_fma_f32 v[4:5], v[4:5], 2.0, v[8:9] op_sel_hi:[1,0,1] neg_lo:[0,0,1] neg_hi:[0,0,1]
	v_mul_f32_e32 v57, 0x3f3504f3, v120
	v_fmamk_f32 v13, v120, 0xbf3504f3, v5
	v_mov_b32_e32 v12, v4
	v_pk_add_f32 v[14:15], v[4:5], v[58:59] neg_lo:[0,1] neg_hi:[0,1]
	v_pk_add_f32 v[12:13], v[12:13], v[58:59]
	v_pk_add_f32 v[58:59], v[10:11], v[6:7] neg_lo:[0,1] neg_hi:[0,1]
	v_mul_f32_e32 v41, 0x3f3504f3, v118
	v_pk_fma_f32 v[6:7], v[10:11], 2.0, v[58:59] op_sel_hi:[1,0,1] neg_lo:[0,0,1] neg_hi:[0,0,1]
	v_mul_f32_e32 v49, 0x3f3504f3, v119
	v_pk_fma_f32 v[34:35], v[46:47], 2.0, v[24:25] op_sel_hi:[1,0,1] neg_lo:[0,0,1] neg_hi:[0,0,1]
	v_pk_add_f32 v[46:47], v[68:69], v[36:37] neg_lo:[0,1] neg_hi:[0,1]
	v_fmac_f32_e32 v3, 0x3f3504f3, v118
	v_fmamk_f32 v11, v121, 0xbf3504f3, v7
	v_mov_b32_e32 v10, v6
	v_fmamk_f32 v79, v119, 0x3f3504f3, v59
	v_mov_b32_e32 v2, v8
	v_mov_b32_e32 v78, v58
	v_pk_fma_f32 v[68:69], v[68:69], 2.0, v[46:47] op_sel_hi:[1,0,1] neg_lo:[0,0,1] neg_hi:[0,0,1]
	v_mov_b32_e32 v15, v13
	v_pk_add_f32 v[56:57], v[10:11], v[56:57] neg_lo:[0,1] neg_hi:[0,1]
	v_pk_add_f32 v[2:3], v[2:3], v[48:49]
	v_pk_add_f32 v[40:41], v[78:79], v[40:41] neg_lo:[0,1] neg_hi:[0,1]
	v_mul_f32_e32 v115, 0x3f3504f3, v124
	v_mul_f32_e32 v31, 0x3f3504f3, v50
	v_lshl_add_u32 v127, v1, 5, v54
	s_movk_i32 s0, 0xffe4
	v_fmamk_f32 v51, v55, 0x3f3504f3, v39
	v_fmamk_f32 v37, v125, 0xbf3504f3, v69
	v_mov_b32_e32 v36, v68
	v_pk_fma_f32 v[4:5], v[4:5], 2.0, v[14:15] op_sel_hi:[1,0,1] neg_lo:[0,0,1] neg_hi:[0,0,1]
	v_pk_fma_f32 v[64:65], v[6:7], 2.0, v[56:57] op_sel_hi:[1,0,1] neg_lo:[0,0,1] neg_hi:[0,0,1]
	;; [unrolled: 1-line block ×4, first 2 shown]
	v_mov_b32_e32 v50, v38
	v_mad_i32_i24 v67, v21, s0, v128
	v_lshl_add_u32 v77, v94, 2, v54
	v_mad_i32_i24 v110, v80, s0, v129
	v_pk_add_f32 v[36:37], v[36:37], v[114:115] neg_lo:[0,1] neg_hi:[0,1]
	v_fmamk_f32 v75, v62, 0x3f3504f3, v53
	ds_write2_b64 v127, v[4:5], v[6:7] offset1:1
	ds_write2_b64 v127, v[14:15], v[2:3] offset0:2 offset1:3
	s_waitcnt lgkmcnt(0)
	s_barrier
	ds_read2st64_b32 v[12:13], v63 offset0:8 offset1:10
	ds_read2st64_b32 v[112:113], v63 offset0:12 offset1:14
	;; [unrolled: 1-line block ×14, first 2 shown]
	ds_read_b32 v49, v66
	ds_read_b32 v55, v67
	;; [unrolled: 1-line block ×4, first 2 shown]
	s_waitcnt lgkmcnt(0)
	s_barrier
	ds_write2_b64 v127, v[64:65], v[58:59] offset1:1
	ds_write2_b64 v127, v[56:57], v[40:41] offset0:2 offset1:3
	v_pk_add_f32 v[40:41], v[50:51], v[42:43] neg_lo:[0,1] neg_hi:[0,1]
	v_mul_f32_e32 v45, 0x3f3504f3, v122
	v_fmamk_f32 v61, v123, 0x3f3504f3, v47
	v_pk_fma_f32 v[38:39], v[38:39], 2.0, v[40:41] op_sel_hi:[1,0,1] neg_lo:[0,0,1] neg_hi:[0,0,1]
	v_mov_b32_e32 v60, v46
	ds_write2_b64 v111, v[34:35], v[38:39] offset1:1
	ds_write2_b64 v111, v[24:25], v[40:41] offset0:2 offset1:3
	v_pk_add_f32 v[24:25], v[60:61], v[44:45] neg_lo:[0,1] neg_hi:[0,1]
	v_pk_fma_f32 v[68:69], v[68:69], 2.0, v[36:37] op_sel_hi:[1,0,1] neg_lo:[0,0,1] neg_hi:[0,0,1]
	v_pk_fma_f32 v[34:35], v[46:47], 2.0, v[24:25] op_sel_hi:[1,0,1] neg_lo:[0,0,1] neg_hi:[0,0,1]
	v_mov_b32_e32 v74, v52
	ds_write2_b64 v128, v[68:69], v[34:35] offset1:1
	ds_write2_b64 v128, v[36:37], v[24:25] offset0:2 offset1:3
	v_pk_add_f32 v[24:25], v[74:75], v[30:31] neg_lo:[0,1] neg_hi:[0,1]
	s_movk_i32 s0, 0x780
	v_pk_fma_f32 v[30:31], v[52:53], 2.0, v[24:25] op_sel_hi:[1,0,1] neg_lo:[0,0,1] neg_hi:[0,0,1]
	ds_write2_b64 v129, v[72:73], v[30:31] offset1:1
	ds_write2_b64 v129, v[70:71], v[24:25] offset0:2 offset1:3
	v_and_b32_e32 v24, 7, v0
	v_mul_u32_u24_e32 v25, 15, v24
	v_lshlrev_b32_e32 v25, 3, v25
	s_waitcnt lgkmcnt(0)
	s_barrier
	global_load_dwordx4 v[34:37], v25, s[2:3] offset:16
	global_load_dwordx4 v[38:41], v25, s[2:3] offset:32
	;; [unrolled: 1-line block ×3, first 2 shown]
	global_load_dwordx4 v[50:53], v25, s[2:3]
	global_load_dwordx4 v[56:59], v25, s[2:3] offset:64
	global_load_dwordx4 v[68:71], v25, s[2:3] offset:80
	ds_read2st64_b32 v[30:31], v63 offset0:8 offset1:10
	ds_read2st64_b32 v[46:47], v63 offset0:12 offset1:14
	;; [unrolled: 1-line block ×9, first 2 shown]
	v_lshl_add_u32 v84, v84, 2, v54
	v_lshl_add_u32 v85, v85, 2, v54
	;; [unrolled: 1-line block ×4, first 2 shown]
	s_waitcnt vmcnt(5) lgkmcnt(7)
	v_mul_f32_e32 v76, v46, v35
	v_mul_f32_e32 v72, v112, v35
	;; [unrolled: 1-line block ×3, first 2 shown]
	v_fmac_f32_e32 v76, v112, v34
	v_fma_f32 v46, v46, v34, -v72
	v_fmac_f32_e32 v124, v113, v34
	v_mul_f32_e32 v35, v113, v35
	global_load_dwordx2 v[112:113], v25, s[2:3] offset:112
	global_load_dwordx4 v[72:75], v25, s[2:3] offset:96
	s_waitcnt lgkmcnt(6)
	v_mul_f32_e32 v111, v60, v37
	v_fmac_f32_e32 v111, v114, v36
	v_mul_f32_e32 v114, v114, v37
	v_fma_f32 v60, v60, v36, -v114
	s_waitcnt vmcnt(6) lgkmcnt(5)
	v_mul_f32_e32 v114, v64, v39
	v_fmac_f32_e32 v114, v32, v38
	v_mul_f32_e32 v32, v32, v39
	v_fma_f32 v25, v47, v34, -v35
	v_mul_f32_e32 v47, v61, v37
	v_fma_f32 v64, v64, v38, -v32
	v_mul_f32_e32 v125, v65, v39
	v_mul_f32_e32 v32, v33, v39
	v_fmac_f32_e32 v47, v115, v36
	v_mul_f32_e32 v37, v115, v37
	s_waitcnt lgkmcnt(4)
	v_mul_f32_e32 v115, v78, v41
	v_fmac_f32_e32 v125, v33, v38
	v_mul_f32_e32 v33, v28, v41
	v_fma_f32 v38, v65, v38, -v32
	v_mul_f32_e32 v39, v79, v41
	v_mul_f32_e32 v32, v29, v41
	v_fmac_f32_e32 v115, v28, v40
	v_fmac_f32_e32 v39, v29, v40
	v_fma_f32 v41, v78, v40, -v33
	v_fma_f32 v40, v79, v40, -v32
	s_waitcnt vmcnt(5) lgkmcnt(3)
	v_mul_f32_e32 v65, v116, v43
	v_mul_f32_e32 v79, v117, v43
	v_fmac_f32_e32 v65, v26, v42
	v_mul_f32_e32 v26, v26, v43
	v_fmac_f32_e32 v79, v27, v42
	v_mul_f32_e32 v27, v27, v43
	v_fma_f32 v26, v116, v42, -v26
	s_waitcnt lgkmcnt(2)
	v_mul_f32_e32 v78, v118, v45
	v_fma_f32 v27, v117, v42, -v27
	v_mul_f32_e32 v42, v119, v45
	ds_read2st64_b32 v[34:35], v63 offset0:44 offset1:46
	v_fma_f32 v61, v61, v36, -v37
	ds_read2st64_b32 v[36:37], v63 offset0:48 offset1:50
	ds_read2st64_b32 v[28:29], v63 offset0:52 offset1:54
	;; [unrolled: 1-line block ×3, first 2 shown]
	v_fmac_f32_e32 v78, v22, v44
	v_mul_f32_e32 v22, v22, v45
	v_fmac_f32_e32 v42, v23, v44
	v_mul_f32_e32 v23, v23, v45
	ds_read_b32 v43, v66
	ds_read_b32 v45, v67
	v_fma_f32 v23, v119, v44, -v23
	s_waitcnt vmcnt(3) lgkmcnt(7)
	v_mul_f32_e32 v119, v121, v57
	v_fmac_f32_e32 v119, v17, v56
	v_mul_f32_e32 v17, v17, v57
	s_waitcnt lgkmcnt(0)
	v_mul_f32_e32 v117, v45, v51
	v_fmac_f32_e32 v117, v55, v50
	v_mul_f32_e32 v55, v55, v51
	v_fma_f32 v45, v45, v50, -v55
	v_mul_f32_e32 v55, v120, v57
	v_fmac_f32_e32 v55, v16, v56
	v_mul_f32_e32 v16, v16, v57
	v_fma_f32 v22, v118, v44, -v22
	v_fma_f32 v16, v120, v56, -v16
	v_mul_f32_e32 v118, v122, v59
	v_mul_f32_e32 v57, v14, v59
	v_fma_f32 v17, v121, v56, -v17
	v_mul_f32_e32 v56, v123, v59
	v_mul_f32_e32 v59, v15, v59
	v_fmac_f32_e32 v118, v14, v58
	v_fmac_f32_e32 v56, v15, v58
	v_fma_f32 v57, v122, v58, -v57
	v_fma_f32 v58, v123, v58, -v59
	v_mul_f32_e32 v59, v30, v53
	ds_read_b32 v44, v77
	ds_read_b32 v116, v110
	v_fmac_f32_e32 v59, v12, v52
	v_mul_f32_e32 v12, v12, v53
	v_fma_f32 v12, v30, v52, -v12
	s_waitcnt vmcnt(2)
	v_mul_f32_e32 v30, v34, v69
	v_fmac_f32_e32 v30, v10, v68
	v_mul_f32_e32 v10, v10, v69
	v_fma_f32 v10, v34, v68, -v10
	v_mul_f32_e32 v34, v36, v71
	v_fmac_f32_e32 v34, v8, v70
	v_mul_f32_e32 v8, v8, v71
	v_mul_f32_e32 v120, v31, v53
	v_fma_f32 v8, v36, v70, -v8
	s_waitcnt lgkmcnt(0)
	v_mul_f32_e32 v36, v116, v51
	v_mul_f32_e32 v51, v62, v51
	ds_read2st64_b32 v[14:15], v63 offset0:60 offset1:62
	v_fmac_f32_e32 v120, v13, v52
	v_mul_f32_e32 v13, v13, v53
	v_fmac_f32_e32 v36, v62, v50
	v_fma_f32 v50, v116, v50, -v51
	v_mul_f32_e32 v51, v35, v69
	v_fma_f32 v13, v31, v52, -v13
	s_waitcnt vmcnt(0)
	v_mul_f32_e32 v31, v28, v73
	v_fmac_f32_e32 v51, v11, v68
	v_mul_f32_e32 v11, v11, v69
	v_fmac_f32_e32 v31, v6, v72
	v_mul_f32_e32 v6, v6, v73
	v_fma_f32 v11, v35, v68, -v11
	v_mul_f32_e32 v35, v29, v73
	v_fma_f32 v6, v28, v72, -v6
	v_mul_f32_e32 v28, v32, v75
	v_fmac_f32_e32 v35, v7, v72
	v_mul_f32_e32 v7, v7, v73
	v_fmac_f32_e32 v28, v4, v74
	v_mul_f32_e32 v4, v4, v75
	v_fma_f32 v7, v29, v72, -v7
	v_mul_f32_e32 v29, v33, v75
	v_fma_f32 v4, v32, v74, -v4
	s_waitcnt lgkmcnt(0)
	v_mul_f32_e32 v32, v14, v113
	v_fmac_f32_e32 v29, v5, v74
	v_mul_f32_e32 v5, v5, v75
	v_fmac_f32_e32 v32, v2, v112
	v_mul_f32_e32 v2, v2, v113
	v_fma_f32 v5, v33, v74, -v5
	v_mul_f32_e32 v33, v15, v113
	v_fma_f32 v2, v14, v112, -v2
	v_mul_f32_e32 v14, v37, v71
	v_fmac_f32_e32 v33, v3, v112
	v_mul_f32_e32 v3, v3, v113
	v_fmac_f32_e32 v14, v9, v70
	v_mul_f32_e32 v9, v9, v71
	v_fma_f32 v3, v15, v112, -v3
	v_sub_f32_e32 v15, v49, v78
	v_sub_f32_e32 v22, v43, v22
	;; [unrolled: 1-line block ×8, first 2 shown]
	v_fma_f32 v9, v37, v70, -v9
	v_fma_f32 v37, v49, 2.0, -v15
	v_fma_f32 v49, v111, 2.0, -v34
	;; [unrolled: 1-line block ×5, first 2 shown]
	v_sub_f32_e32 v55, v117, v55
	v_sub_f32_e32 v31, v114, v31
	;; [unrolled: 1-line block ×4, first 2 shown]
	v_add_f32_e32 v8, v15, v8
	v_sub_f32_e32 v34, v22, v34
	v_add_f32_e32 v4, v53, v4
	v_sub_f32_e32 v28, v57, v28
	v_fma_f32 v43, v43, 2.0, -v22
	v_fma_f32 v59, v59, 2.0, -v53
	;; [unrolled: 1-line block ×3, first 2 shown]
	v_sub_f32_e32 v16, v45, v16
	v_fma_f32 v62, v117, 2.0, -v55
	v_sub_f32_e32 v6, v64, v6
	v_fma_f32 v68, v114, 2.0, -v31
	;; [unrolled: 2-line block ×4, first 2 shown]
	v_fma_f32 v15, v15, 2.0, -v8
	v_fma_f32 v22, v22, 2.0, -v34
	;; [unrolled: 1-line block ×8, first 2 shown]
	v_sub_f32_e32 v52, v43, v52
	v_sub_f32_e32 v60, v59, v60
	;; [unrolled: 1-line block ×4, first 2 shown]
	v_fmamk_f32 v70, v53, 0xbf3504f3, v15
	v_fmamk_f32 v71, v57, 0xbf3504f3, v22
	v_fma_f32 v59, v59, 2.0, -v60
	v_sub_f32_e32 v64, v45, v64
	v_fma_f32 v62, v62, 2.0, -v68
	v_add_f32_e32 v6, v55, v6
	v_sub_f32_e32 v26, v46, v26
	v_fma_f32 v69, v69, 2.0, -v65
	v_add_f32_e32 v2, v30, v2
	v_fmac_f32_e32 v70, 0x3f3504f3, v57
	v_fmac_f32_e32 v71, 0xbf3504f3, v53
	v_sub_f32_e32 v53, v52, v60
	v_fmamk_f32 v57, v4, 0x3f3504f3, v8
	v_fmamk_f32 v60, v28, 0x3f3504f3, v34
	v_fma_f32 v45, v45, 2.0, -v64
	v_sub_f32_e32 v31, v16, v31
	v_fma_f32 v55, v55, 2.0, -v6
	v_fma_f32 v46, v46, 2.0, -v26
	v_sub_f32_e32 v32, v10, v32
	v_fma_f32 v30, v30, 2.0, -v2
	v_fmac_f32_e32 v57, 0x3f3504f3, v28
	v_fmac_f32_e32 v60, 0xbf3504f3, v4
	v_sub_f32_e32 v28, v62, v69
	v_sub_f32_e32 v49, v37, v49
	v_fma_f32 v16, v16, 2.0, -v31
	v_fma_f32 v10, v10, 2.0, -v32
	;; [unrolled: 1-line block ×4, first 2 shown]
	v_sub_f32_e32 v34, v45, v46
	v_fma_f32 v46, v62, 2.0, -v28
	v_fmamk_f32 v62, v30, 0xbf3504f3, v55
	v_fma_f32 v37, v37, 2.0, -v49
	v_fmamk_f32 v69, v10, 0xbf3504f3, v16
	v_fmac_f32_e32 v62, 0x3f3504f3, v10
	v_add_f32_e32 v26, v68, v26
	v_sub_f32_e32 v59, v37, v59
	v_fmac_f32_e32 v69, 0xbf3504f3, v30
	v_fma_f32 v10, v55, 2.0, -v62
	v_sub_f32_e32 v30, v64, v65
	v_fma_f32 v55, v68, 2.0, -v26
	v_fmamk_f32 v65, v2, 0x3f3504f3, v6
	v_fmamk_f32 v68, v32, 0x3f3504f3, v31
	v_fma_f32 v37, v37, 2.0, -v59
	v_fmac_f32_e32 v65, 0x3f3504f3, v32
	v_fmac_f32_e32 v68, 0xbf3504f3, v2
	v_sub_f32_e32 v41, v12, v41
	v_fma_f32 v15, v15, 2.0, -v70
	v_fma_f32 v2, v6, 2.0, -v65
	;; [unrolled: 1-line block ×3, first 2 shown]
	v_sub_f32_e32 v31, v37, v46
	v_fma_f32 v12, v12, 2.0, -v41
	v_fma_f32 v22, v22, 2.0, -v71
	v_add_f32_e32 v41, v49, v41
	v_fma_f32 v16, v16, 2.0, -v69
	v_fma_f32 v32, v37, 2.0, -v31
	v_fmamk_f32 v37, v10, 0xbf6c835e, v15
	v_fma_f32 v43, v43, 2.0, -v52
	v_fma_f32 v49, v49, 2.0, -v41
	;; [unrolled: 1-line block ×4, first 2 shown]
	v_fmamk_f32 v46, v16, 0xbf6c835e, v22
	v_fmac_f32_e32 v37, 0x3ec3ef15, v16
	v_fmac_f32_e32 v46, 0xbec3ef15, v10
	v_fma_f32 v10, v15, 2.0, -v37
	v_fmamk_f32 v15, v55, 0xbf3504f3, v49
	v_fmamk_f32 v73, v64, 0xbf3504f3, v52
	v_fmac_f32_e32 v15, 0x3f3504f3, v64
	v_fmac_f32_e32 v73, 0xbf3504f3, v55
	v_fma_f32 v16, v49, 2.0, -v15
	v_fma_f32 v49, v52, 2.0, -v73
	v_fmamk_f32 v52, v6, 0xbec3ef15, v8
	v_sub_f32_e32 v12, v43, v12
	v_fma_f32 v72, v22, 2.0, -v46
	v_fmamk_f32 v22, v2, 0xbec3ef15, v4
	v_fmac_f32_e32 v52, 0xbf6c835e, v2
	v_fmac_f32_e32 v22, 0x3f6c835e, v6
	v_fma_f32 v6, v8, 2.0, -v52
	v_sub_f32_e32 v8, v12, v28
	v_fma_f32 v43, v43, 2.0, -v12
	v_fma_f32 v2, v4, 2.0, -v22
	v_add_f32_e32 v4, v59, v34
	v_fma_f32 v55, v12, 2.0, -v8
	v_fmamk_f32 v12, v62, 0x3ec3ef15, v70
	v_fma_f32 v28, v59, 2.0, -v4
	v_fmamk_f32 v59, v69, 0x3ec3ef15, v71
	v_fmac_f32_e32 v12, 0x3f6c835e, v69
	v_fmamk_f32 v64, v26, 0x3f3504f3, v41
	v_fmamk_f32 v69, v30, 0x3f3504f3, v53
	v_fmac_f32_e32 v64, 0x3f3504f3, v30
	v_fmac_f32_e32 v69, 0xbf3504f3, v26
	v_fma_f32 v26, v41, 2.0, -v64
	v_fma_f32 v41, v53, 2.0, -v69
	v_fmamk_f32 v53, v68, 0x3f6c835e, v60
	v_sub_f32_e32 v42, v48, v42
	v_sub_f32_e32 v23, v44, v23
	;; [unrolled: 1-line block ×8, first 2 shown]
	v_fmamk_f32 v30, v65, 0x3f6c835e, v57
	v_fmac_f32_e32 v53, 0xbec3ef15, v65
	v_fma_f32 v44, v44, 2.0, -v23
	v_fma_f32 v47, v47, 2.0, -v14
	;; [unrolled: 1-line block ×6, first 2 shown]
	v_add_f32_e32 v9, v42, v9
	v_sub_f32_e32 v14, v23, v14
	v_add_f32_e32 v5, v56, v5
	v_sub_f32_e32 v29, v58, v29
	v_fmac_f32_e32 v59, 0xbf6c835e, v62
	v_fmac_f32_e32 v30, 0x3ec3ef15, v68
	v_fma_f32 v48, v48, 2.0, -v42
	v_fma_f32 v13, v13, 2.0, -v58
	v_sub_f32_e32 v68, v36, v119
	v_sub_f32_e32 v17, v50, v17
	;; [unrolled: 1-line block ×9, first 2 shown]
	v_fma_f32 v42, v42, 2.0, -v9
	v_fma_f32 v23, v23, 2.0, -v14
	v_sub_f32_e32 v39, v65, v39
	v_fma_f32 v56, v56, 2.0, -v5
	v_fma_f32 v58, v58, 2.0, -v29
	;; [unrolled: 1-line block ×14, first 2 shown]
	v_fmamk_f32 v75, v56, 0xbf3504f3, v42
	v_fmamk_f32 v76, v58, 0xbf3504f3, v23
	v_sub_f32_e32 v39, v61, v39
	v_fma_f32 v44, v44, 2.0, -v61
	v_sub_f32_e32 v70, v36, v70
	v_sub_f32_e32 v38, v50, v38
	;; [unrolled: 1-line block ×4, first 2 shown]
	v_fmac_f32_e32 v75, 0x3f3504f3, v58
	v_fmac_f32_e32 v76, 0xbf3504f3, v56
	v_fma_f32 v56, v61, 2.0, -v39
	v_fmamk_f32 v58, v5, 0x3f3504f3, v9
	v_fmamk_f32 v61, v29, 0x3f3504f3, v14
	v_fma_f32 v36, v36, 2.0, -v70
	v_fma_f32 v50, v50, 2.0, -v38
	v_add_f32_e32 v7, v68, v7
	v_fma_f32 v71, v71, 2.0, -v74
	v_fma_f32 v25, v25, 2.0, -v27
	v_add_f32_e32 v3, v51, v3
	v_fmac_f32_e32 v58, 0x3f3504f3, v29
	v_fmac_f32_e32 v61, 0xbf3504f3, v5
	v_sub_f32_e32 v35, v17, v35
	v_fma_f32 v68, v68, 2.0, -v7
	v_sub_f32_e32 v33, v11, v33
	v_fma_f32 v51, v51, 2.0, -v3
	v_fma_f32 v5, v9, 2.0, -v58
	;; [unrolled: 1-line block ×3, first 2 shown]
	v_sub_f32_e32 v14, v36, v71
	v_sub_f32_e32 v25, v50, v25
	;; [unrolled: 1-line block ×3, first 2 shown]
	v_fma_f32 v17, v17, 2.0, -v35
	v_fma_f32 v11, v11, 2.0, -v33
	;; [unrolled: 1-line block ×4, first 2 shown]
	v_fmamk_f32 v50, v51, 0xbf3504f3, v68
	v_fma_f32 v48, v48, 2.0, -v47
	v_fmamk_f32 v71, v11, 0xbf3504f3, v17
	v_fmac_f32_e32 v50, 0x3f3504f3, v11
	v_add_f32_e32 v27, v70, v27
	v_sub_f32_e32 v40, v13, v40
	v_sub_f32_e32 v65, v48, v65
	v_fmac_f32_e32 v71, 0xbf3504f3, v51
	v_fma_f32 v11, v68, 2.0, -v50
	v_sub_f32_e32 v51, v38, v74
	v_fma_f32 v68, v70, 2.0, -v27
	v_fmamk_f32 v70, v3, 0x3f3504f3, v7
	v_fmamk_f32 v74, v33, 0x3f3504f3, v35
	v_fma_f32 v13, v13, 2.0, -v40
	v_fma_f32 v48, v48, 2.0, -v65
	;; [unrolled: 1-line block ×3, first 2 shown]
	v_add_f32_e32 v40, v47, v40
	v_fmac_f32_e32 v70, 0x3f3504f3, v33
	v_fmac_f32_e32 v74, 0xbf3504f3, v3
	v_fma_f32 v23, v23, 2.0, -v76
	v_fma_f32 v47, v47, 2.0, -v40
	;; [unrolled: 1-line block ×5, first 2 shown]
	v_sub_f32_e32 v29, v48, v29
	v_fmamk_f32 v35, v11, 0xbf6c835e, v42
	v_fma_f32 v38, v38, 2.0, -v51
	v_fma_f32 v33, v48, 2.0, -v29
	v_fmamk_f32 v48, v17, 0xbf6c835e, v23
	v_fmac_f32_e32 v35, 0x3ec3ef15, v17
	v_fmamk_f32 v17, v68, 0xbf3504f3, v47
	v_sub_f32_e32 v13, v44, v13
	v_fmac_f32_e32 v48, 0xbec3ef15, v11
	v_fmac_f32_e32 v17, 0x3f3504f3, v38
	v_fma_f32 v44, v44, 2.0, -v13
	v_fma_f32 v11, v42, 2.0, -v35
	v_fma_f32 v42, v23, 2.0, -v48
	v_fma_f32 v23, v47, 2.0, -v17
	v_fmamk_f32 v47, v7, 0xbec3ef15, v9
	v_sub_f32_e32 v78, v44, v36
	v_fmamk_f32 v79, v38, 0xbf3504f3, v56
	v_fmamk_f32 v36, v3, 0xbec3ef15, v5
	v_fmac_f32_e32 v47, 0xbf6c835e, v3
	v_fmac_f32_e32 v79, 0xbf3504f3, v68
	;; [unrolled: 1-line block ×3, first 2 shown]
	v_fma_f32 v7, v9, 2.0, -v47
	v_sub_f32_e32 v9, v13, v14
	v_fma_f32 v38, v56, 2.0, -v79
	v_fma_f32 v3, v5, 2.0, -v36
	v_add_f32_e32 v5, v65, v25
	v_fma_f32 v56, v13, 2.0, -v9
	v_fmamk_f32 v13, v50, 0x3ec3ef15, v75
	v_fmamk_f32 v68, v27, 0x3f3504f3, v40
	v_fma_f32 v14, v65, 2.0, -v5
	v_fmamk_f32 v65, v71, 0x3ec3ef15, v76
	v_fmac_f32_e32 v13, 0x3f6c835e, v71
	v_fmamk_f32 v71, v51, 0x3f3504f3, v39
	v_fmac_f32_e32 v68, 0x3f3504f3, v51
	;; [unrolled: 2-line block ×3, first 2 shown]
	v_fma_f32 v27, v40, 2.0, -v68
	v_fmamk_f32 v40, v70, 0x3f6c835e, v58
	v_fmac_f32_e32 v51, 0xbec3ef15, v70
	v_lshlrev_b32_e32 v70, 4, v0
	v_and_or_b32 v70, v70, s0, v24
	v_lshl_add_u32 v70, v70, 2, v54
	v_fma_f32 v57, v57, 2.0, -v30
	s_barrier
	ds_write2_b32 v70, v32, v10 offset1:8
	ds_write2_b32 v70, v16, v2 offset0:16 offset1:24
	ds_write2_b32 v70, v28, v34 offset0:32 offset1:40
	ds_write2_b32 v70, v26, v57 offset0:48 offset1:56
	ds_write2_b32 v70, v31, v37 offset0:64 offset1:72
	ds_write2_b32 v70, v15, v22 offset0:80 offset1:88
	ds_write2_b32 v70, v4, v12 offset0:96 offset1:104
	ds_write2_b32 v70, v64, v30 offset0:112 offset1:120
	v_lshlrev_b32_e32 v2, 4, v94
	s_movk_i32 s0, 0xf80
	v_sub_f32_e32 v45, v43, v45
	v_and_or_b32 v2, v2, s0, v24
	v_fma_f32 v43, v43, 2.0, -v45
	v_fmac_f32_e32 v65, 0xbf6c835e, v50
	v_fma_f32 v25, v75, 2.0, -v13
	v_fmac_f32_e32 v40, 0x3ec3ef15, v74
	v_lshl_add_u32 v57, v2, 2, v54
	v_fma_f32 v60, v60, 2.0, -v53
	v_fma_f32 v44, v44, 2.0, -v78
	;; [unrolled: 1-line block ×6, first 2 shown]
	ds_write2_b32 v57, v33, v11 offset1:8
	ds_write2_b32 v57, v23, v3 offset0:16 offset1:24
	ds_write2_b32 v57, v14, v25 offset0:32 offset1:40
	;; [unrolled: 1-line block ×7, first 2 shown]
	s_waitcnt lgkmcnt(0)
	s_barrier
	ds_read_b32 v74, v66
	ds_read2st64_b32 v[10:11], v63 offset0:16 offset1:18
	ds_read2st64_b32 v[12:13], v63 offset0:32 offset1:34
	;; [unrolled: 1-line block ×3, first 2 shown]
	ds_read_b32 v75, v110
	ds_read_b32 v76, v77
	;; [unrolled: 1-line block ×3, first 2 shown]
	ds_read2st64_b32 v[16:17], v63 offset0:20 offset1:22
	ds_read2st64_b32 v[22:23], v63 offset0:36 offset1:38
	;; [unrolled: 1-line block ×11, first 2 shown]
	s_waitcnt lgkmcnt(0)
	s_barrier
	ds_write2_b32 v70, v43, v72 offset1:8
	ds_write2_b32 v70, v49, v6 offset0:16 offset1:24
	ds_write2_b32 v70, v55, v62 offset0:32 offset1:40
	;; [unrolled: 1-line block ×7, first 2 shown]
	ds_write2_b32 v57, v44, v42 offset1:8
	ds_write2_b32 v57, v38, v7 offset0:16 offset1:24
	ds_write2_b32 v57, v56, v50 offset0:32 offset1:40
	;; [unrolled: 1-line block ×7, first 2 shown]
	v_mul_u32_u24_e32 v6, 3, v1
	v_lshlrev_b32_e32 v40, 3, v6
	s_waitcnt lgkmcnt(0)
	s_barrier
	global_load_dwordx4 v[6:9], v40, s[2:3] offset:960
	global_load_dwordx2 v[38:39], v40, s[2:3] offset:976
	ds_read_b32 v55, v66
	ds_read2st64_b32 v[40:41], v63 offset0:16 offset1:18
	ds_read2st64_b32 v[42:43], v63 offset0:32 offset1:34
	;; [unrolled: 1-line block ×3, first 2 shown]
	ds_read_b32 v62, v110
	ds_read_b32 v78, v77
	;; [unrolled: 1-line block ×3, first 2 shown]
	ds_read2st64_b32 v[46:47], v63 offset0:20 offset1:22
	ds_read2st64_b32 v[48:49], v63 offset0:36 offset1:38
	;; [unrolled: 1-line block ×11, first 2 shown]
	s_waitcnt lgkmcnt(0)
	s_barrier
	s_mov_b32 s0, 0x3f3504f3
	s_waitcnt vmcnt(1)
	v_mul_f32_e32 v112, v40, v7
	v_fmac_f32_e32 v112, v10, v6
	v_mul_f32_e32 v10, v10, v7
	v_fma_f32 v10, v40, v6, -v10
	v_mul_f32_e32 v40, v42, v9
	v_fmac_f32_e32 v40, v12, v8
	v_mul_f32_e32 v12, v12, v9
	v_fma_f32 v12, v42, v8, -v12
	s_waitcnt vmcnt(0)
	v_mul_f32_e32 v42, v44, v39
	v_fmac_f32_e32 v42, v14, v38
	v_mul_f32_e32 v14, v14, v39
	v_fma_f32 v14, v44, v38, -v14
	v_mul_f32_e32 v44, v41, v7
	v_fmac_f32_e32 v44, v11, v6
	v_mul_f32_e32 v11, v11, v7
	v_fma_f32 v11, v41, v6, -v11
	;; [unrolled: 4-line block ×19, first 2 shown]
	v_mul_f32_e32 v72, v69, v7
	v_mul_f32_e32 v7, v33, v7
	v_fmac_f32_e32 v72, v33, v6
	v_fma_f32 v6, v69, v6, -v7
	v_mul_f32_e32 v7, v71, v9
	v_mul_f32_e32 v9, v35, v9
	v_fmac_f32_e32 v7, v35, v8
	v_fma_f32 v8, v71, v8, -v9
	v_mul_f32_e32 v9, v73, v39
	v_mul_f32_e32 v33, v37, v39
	v_sub_f32_e32 v12, v55, v12
	v_sub_f32_e32 v14, v10, v14
	v_fmac_f32_e32 v9, v37, v38
	v_fma_f32 v33, v73, v38, -v33
	v_fma_f32 v38, v55, 2.0, -v12
	v_fma_f32 v10, v10, 2.0, -v14
	v_sub_f32_e32 v35, v74, v40
	v_sub_f32_e32 v39, v112, v42
	v_sub_f32_e32 v10, v38, v10
	v_fma_f32 v37, v74, 2.0, -v35
	v_fma_f32 v40, v112, 2.0, -v39
	;; [unrolled: 1-line block ×3, first 2 shown]
	v_sub_f32_e32 v38, v76, v41
	v_sub_f32_e32 v43, v44, v43
	;; [unrolled: 1-line block ×3, first 2 shown]
	v_fma_f32 v41, v76, 2.0, -v38
	v_fma_f32 v44, v44, 2.0, -v43
	;; [unrolled: 1-line block ×3, first 2 shown]
	v_add_f32_e32 v14, v35, v14
	v_sub_f32_e32 v15, v11, v15
	v_sub_f32_e32 v44, v41, v44
	v_fma_f32 v35, v35, 2.0, -v14
	v_fma_f32 v11, v11, 2.0, -v15
	;; [unrolled: 1-line block ×3, first 2 shown]
	v_add_f32_e32 v15, v38, v15
	v_sub_f32_e32 v46, v111, v46
	v_sub_f32_e32 v22, v79, v22
	v_sub_f32_e32 v48, v45, v48
	ds_write_b32 v63, v37
	ds_write_b32 v77, v35
	;; [unrolled: 1-line block ×4, first 2 shown]
	v_lshl_add_u32 v14, v81, 2, v54
	v_fma_f32 v38, v38, 2.0, -v15
	v_fma_f32 v69, v111, 2.0, -v46
	v_sub_f32_e32 v24, v16, v24
	v_fma_f32 v45, v45, 2.0, -v48
	v_sub_f32_e32 v48, v22, v48
	ds_write_b32 v14, v41
	v_lshl_add_u32 v40, v88, 2, v54
	v_lshl_add_u32 v41, v96, 2, v54
	v_fma_f32 v71, v79, 2.0, -v22
	v_fma_f32 v16, v16, 2.0, -v24
	v_sub_f32_e32 v45, v69, v45
	v_add_f32_e32 v24, v46, v24
	v_fma_f32 v79, v22, 2.0, -v48
	v_sub_f32_e32 v22, v75, v47
	v_sub_f32_e32 v49, v50, v49
	;; [unrolled: 1-line block ×4, first 2 shown]
	ds_write_b32 v40, v38
	ds_write_b32 v41, v44
	v_lshl_add_u32 v44, v103, 2, v54
	v_fma_f32 v69, v69, 2.0, -v45
	v_fma_f32 v46, v46, 2.0, -v24
	;; [unrolled: 1-line block ×4, first 2 shown]
	v_sub_f32_e32 v56, v4, v56
	v_fma_f32 v52, v52, 2.0, -v28
	v_sub_f32_e32 v58, v51, v58
	v_fma_f32 v26, v26, 2.0, -v30
	ds_write_b32 v44, v15
	v_lshl_add_u32 v15, v82, 2, v54
	v_lshl_add_u32 v81, v89, 2, v54
	v_sub_f32_e32 v25, v17, v25
	v_sub_f32_e32 v50, v47, v50
	;; [unrolled: 1-line block ×3, first 2 shown]
	v_add_f32_e32 v26, v56, v30
	v_sub_f32_e32 v113, v28, v58
	v_sub_f32_e32 v29, v53, v29
	;; [unrolled: 1-line block ×3, first 2 shown]
	ds_write_b32 v15, v69
	ds_write_b32 v81, v46
	v_lshl_add_u32 v46, v97, 2, v54
	v_fma_f32 v17, v17, 2.0, -v25
	v_fma_f32 v47, v47, 2.0, -v50
	v_add_f32_e32 v25, v22, v25
	v_fma_f32 v4, v4, 2.0, -v56
	v_fma_f32 v51, v51, 2.0, -v58
	;; [unrolled: 1-line block ×4, first 2 shown]
	v_sub_f32_e32 v28, v5, v57
	v_fma_f32 v53, v53, 2.0, -v29
	v_sub_f32_e32 v57, v60, v59
	v_fma_f32 v27, v27, 2.0, -v31
	ds_write_b32 v46, v45
	v_lshl_add_u32 v45, v104, 2, v54
	v_lshl_add_u32 v82, v83, 2, v54
	v_fma_f32 v22, v22, 2.0, -v25
	v_sub_f32_e32 v51, v4, v51
	v_fma_f32 v58, v60, 2.0, -v57
	v_sub_f32_e32 v114, v53, v27
	v_add_f32_e32 v27, v28, v31
	v_sub_f32_e32 v57, v29, v57
	v_sub_f32_e32 v31, v64, v34
	;; [unrolled: 1-line block ×3, first 2 shown]
	ds_write_b32 v45, v24
	ds_write_b32 v82, v47
	v_lshl_add_u32 v47, v90, 2, v54
	v_lshl_add_u32 v83, v98, 2, v54
	v_fma_f32 v4, v4, 2.0, -v51
	v_fma_f32 v5, v5, 2.0, -v28
	v_fma_f32 v115, v29, 2.0, -v57
	v_sub_f32_e32 v29, v2, v68
	v_fma_f32 v34, v64, 2.0, -v31
	v_sub_f32_e32 v59, v61, v70
	v_fma_f32 v32, v32, 2.0, -v36
	ds_write_b32 v47, v22
	ds_write_b32 v83, v50
	v_lshl_add_u32 v50, v105, 2, v54
	v_sub_f32_e32 v58, v5, v58
	v_fma_f32 v2, v2, 2.0, -v29
	v_fma_f32 v60, v61, 2.0, -v59
	v_sub_f32_e32 v116, v34, v32
	v_sub_f32_e32 v118, v31, v59
	;; [unrolled: 1-line block ×6, first 2 shown]
	ds_write_b32 v50, v25
	ds_write_b32 v84, v4
	v_lshl_add_u32 v4, v91, 2, v54
	v_lshl_add_u32 v88, v99, 2, v54
	v_fma_f32 v5, v5, 2.0, -v58
	v_sub_f32_e32 v60, v2, v60
	v_fma_f32 v117, v34, 2.0, -v116
	v_fma_f32 v119, v31, 2.0, -v118
	;; [unrolled: 1-line block ×6, first 2 shown]
	ds_write_b32 v4, v30
	ds_write_b32 v88, v51
	v_lshl_add_u32 v51, v106, 2, v54
	v_fma_f32 v28, v28, 2.0, -v27
	v_fma_f32 v2, v2, 2.0, -v60
	v_add_f32_e32 v32, v29, v36
	v_sub_f32_e32 v34, v3, v34
	v_sub_f32_e32 v6, v31, v6
	ds_write_b32 v51, v26
	ds_write_b32 v85, v5
	v_lshl_add_u32 v5, v92, 2, v54
	v_lshl_add_u32 v89, v100, 2, v54
	v_lshl_add_u32 v90, v107, 2, v54
	v_sub_f32_e32 v23, v62, v23
	v_fma_f32 v29, v29, 2.0, -v32
	v_fma_f32 v3, v3, 2.0, -v34
	;; [unrolled: 1-line block ×3, first 2 shown]
	v_add_f32_e32 v31, v7, v33
	ds_write_b32 v5, v28
	ds_write_b32 v89, v58
	;; [unrolled: 1-line block ×4, first 2 shown]
	v_lshl_add_u32 v2, v93, 2, v54
	v_lshl_add_u32 v91, v101, 2, v54
	;; [unrolled: 1-line block ×3, first 2 shown]
	v_fma_f32 v62, v62, 2.0, -v23
	v_fma_f32 v7, v7, 2.0, -v31
	ds_write_b32 v2, v29
	ds_write_b32 v91, v60
	;; [unrolled: 1-line block ×4, first 2 shown]
	v_lshl_add_u32 v3, v95, 2, v54
	v_sub_f32_e32 v13, v78, v13
	v_sub_f32_e32 v16, v71, v16
	;; [unrolled: 1-line block ×3, first 2 shown]
	ds_write_b32 v3, v7
	v_lshl_add_u32 v7, v102, 2, v54
	v_lshl_add_u32 v54, v109, 2, v54
	v_fma_f32 v55, v78, 2.0, -v13
	v_fma_f32 v78, v71, 2.0, -v16
	;; [unrolled: 1-line block ×3, first 2 shown]
	ds_write_b32 v7, v34
	ds_write_b32 v54, v31
	s_waitcnt lgkmcnt(0)
	s_barrier
	ds_read_b32 v76, v66
	ds_read2st64_b32 v[60:61], v63 offset0:8 offset1:10
	ds_read2st64_b32 v[72:73], v63 offset0:16 offset1:18
	;; [unrolled: 1-line block ×7, first 2 shown]
	ds_read_b32 v22, v110
	ds_read_b32 v62, v77
	;; [unrolled: 1-line block ×3, first 2 shown]
	ds_read2st64_b32 v[26:27], v63 offset0:12 offset1:14
	ds_read2st64_b32 v[24:25], v63 offset0:20 offset1:22
	;; [unrolled: 1-line block ×7, first 2 shown]
	v_sub_f32_e32 v39, v12, v39
	v_sub_f32_e32 v11, v55, v11
	;; [unrolled: 1-line block ×5, first 2 shown]
	v_fma_f32 v12, v12, 2.0, -v39
	v_fma_f32 v55, v55, 2.0, -v11
	;; [unrolled: 1-line block ×7, first 2 shown]
	s_waitcnt lgkmcnt(0)
	s_barrier
	ds_write_b32 v63, v42
	ds_write_b32 v77, v12
	;; [unrolled: 1-line block ×32, first 2 shown]
	s_waitcnt lgkmcnt(0)
	s_barrier
	s_and_saveexec_b64 s[4:5], vcc
	s_cbranch_execz .LBB0_8
; %bb.7:
	v_mul_u32_u24_e32 v1, 7, v1
	v_lshlrev_b32_e32 v1, 3, v1
	global_load_dwordx4 v[6:9], v1, s[2:3] offset:4032
	global_load_dwordx4 v[10:13], v1, s[2:3] offset:4064
	;; [unrolled: 1-line block ×3, first 2 shown]
	global_load_dwordx2 v[104:105], v1, s[2:3] offset:4080
	v_mul_i32_i24_e32 v54, 7, v80
	v_mov_b32_e32 v55, 0
	ds_read2st64_b32 v[48:49], v63 offset0:36 offset1:38
	ds_read2st64_b32 v[40:41], v63 offset0:20 offset1:22
	;; [unrolled: 1-line block ×14, first 2 shown]
	ds_read_b32 v23, v110
	ds_read_b32 v63, v77
	;; [unrolled: 1-line block ×4, first 2 shown]
	v_lshl_add_u64 v[66:67], v[54:55], 3, s[2:3]
	v_mul_i32_i24_e32 v54, 7, v21
	v_lshl_add_u64 v[80:81], v[54:55], 3, s[2:3]
	v_mul_i32_i24_e32 v54, 7, v94
	v_lshl_add_u64 v[106:107], v[54:55], 3, s[2:3]
	global_load_dwordx4 v[2:5], v[66:67], off offset:4064
	global_load_dwordx2 v[52:53], v[66:67], off offset:4080
	global_load_dwordx4 v[100:103], v[106:107], off offset:4048
	global_load_dwordx4 v[14:17], v[106:107], off offset:4032
	v_mov_b32_e32 v21, v55
	v_or_b32_e32 v54, 0x1000, v20
	s_waitcnt vmcnt(7) lgkmcnt(9)
	v_pk_mul_f32 v[94:95], v[8:9], v[92:93] op_sel_hi:[1,0]
	s_nop 0
	v_pk_fma_f32 v[122:123], v[72:73], v[8:9], v[94:95] op_sel:[0,0,1] op_sel_hi:[1,1,0]
	s_waitcnt vmcnt(5)
	v_pk_mul_f32 v[110:111], v[98:99], v[88:89] op_sel_hi:[1,0]
	s_waitcnt lgkmcnt(5)
	v_pk_mul_f32 v[112:113], v[96:97], v[86:87] op_sel_hi:[1,0]
	v_pk_fma_f32 v[120:121], v[70:71], v[98:99], v[110:111] op_sel:[0,0,1] op_sel_hi:[1,1,0]
	v_pk_fma_f32 v[98:99], v[70:71], v[98:99], v[110:111] op_sel:[0,0,1] op_sel_hi:[0,1,0] neg_lo:[1,0,0] neg_hi:[1,0,0]
	v_pk_fma_f32 v[110:111], v[68:69], v[96:97], v[112:113] op_sel:[0,0,1] op_sel_hi:[1,1,0]
	v_pk_fma_f32 v[112:113], v[68:69], v[96:97], v[112:113] op_sel:[0,0,1] op_sel_hi:[0,1,0] neg_lo:[1,0,0] neg_hi:[1,0,0]
	v_pk_fma_f32 v[8:9], v[72:73], v[8:9], v[94:95] op_sel:[0,0,1] op_sel_hi:[0,1,0] neg_lo:[1,0,0] neg_hi:[1,0,0]
	global_load_dwordx4 v[94:97], v[106:107], off offset:4064
	v_pk_mul_f32 v[108:109], v[12:13], v[90:91] op_sel_hi:[1,0]
	s_waitcnt vmcnt(5) lgkmcnt(4)
	v_pk_mul_f32 v[114:115], v[104:105], v[84:85] op_sel_hi:[1,0]
	v_pk_mul_f32 v[116:117], v[6:7], v[82:83] op_sel_hi:[1,0]
	;; [unrolled: 1-line block ×3, first 2 shown]
	v_pk_fma_f32 v[124:125], v[60:61], v[6:7], v[116:117] op_sel:[0,0,1] op_sel_hi:[1,1,0]
	v_pk_fma_f32 v[116:117], v[60:61], v[6:7], v[116:117] op_sel:[0,0,1] op_sel_hi:[0,1,0] neg_lo:[1,0,0] neg_hi:[1,0,0]
	v_pk_fma_f32 v[126:127], v[74:75], v[12:13], v[108:109] op_sel:[0,0,1] op_sel_hi:[1,1,0]
	v_pk_fma_f32 v[6:7], v[74:75], v[12:13], v[108:109] op_sel:[0,0,1] op_sel_hi:[0,1,0] neg_lo:[1,0,0] neg_hi:[1,0,0]
	;; [unrolled: 2-line block ×4, first 2 shown]
	v_mov_b32_e32 v123, v9
	v_mov_b32_e32 v127, v7
	global_load_dwordx4 v[6:9], v[66:67], off offset:4032
	global_load_dwordx4 v[10:13], v[66:67], off offset:4048
	v_mov_b32_e32 v109, v105
	global_load_dwordx2 v[104:105], v[106:107], off offset:4080
	v_mov_b32_e32 v121, v99
	v_mov_b32_e32 v111, v113
	;; [unrolled: 1-line block ×4, first 2 shown]
	v_pk_add_f32 v[106:107], v[122:123], v[126:127] neg_lo:[0,1] neg_hi:[0,1]
	s_waitcnt lgkmcnt(0)
	v_pk_add_f32 v[112:113], v[76:77], v[120:121] neg_lo:[0,1] neg_hi:[0,1]
	v_pk_add_f32 v[108:109], v[110:111], v[108:109] neg_lo:[0,1] neg_hi:[0,1]
	;; [unrolled: 1-line block ×3, first 2 shown]
	v_pk_fma_f32 v[76:77], v[76:77], 2.0, v[112:113] op_sel_hi:[1,0,1] neg_lo:[0,0,1] neg_hi:[0,0,1]
	v_pk_fma_f32 v[116:117], v[122:123], 2.0, v[106:107] op_sel_hi:[1,0,1] neg_lo:[0,0,1] neg_hi:[0,0,1]
	;; [unrolled: 1-line block ×4, first 2 shown]
	v_pk_add_f32 v[120:121], v[112:113], v[106:107] op_sel:[0,1] op_sel_hi:[1,0]
	v_pk_add_f32 v[106:107], v[112:113], v[106:107] op_sel:[0,1] op_sel_hi:[1,0] neg_lo:[0,1] neg_hi:[0,1]
	v_pk_add_f32 v[116:117], v[76:77], v[116:117] neg_lo:[0,1] neg_hi:[0,1]
	v_pk_add_f32 v[110:111], v[118:119], v[110:111] neg_lo:[0,1] neg_hi:[0,1]
	v_mov_b32_e32 v121, v107
	v_pk_fma_f32 v[76:77], v[76:77], 2.0, v[116:117] op_sel_hi:[1,0,1] neg_lo:[0,0,1] neg_hi:[0,0,1]
	v_pk_fma_f32 v[106:107], v[118:119], 2.0, v[110:111] op_sel_hi:[1,0,1] neg_lo:[0,0,1] neg_hi:[0,0,1]
	v_pk_add_f32 v[122:123], v[114:115], v[108:109] op_sel:[0,1] op_sel_hi:[1,0]
	v_pk_add_f32 v[108:109], v[114:115], v[108:109] op_sel:[0,1] op_sel_hi:[1,0] neg_lo:[0,1] neg_hi:[0,1]
	v_pk_add_f32 v[106:107], v[76:77], v[106:107] neg_lo:[0,1] neg_hi:[0,1]
	v_lshl_add_u64 v[66:67], v[18:19], 0, v[20:21]
	v_mov_b32_e32 v123, v109
	v_pk_fma_f32 v[76:77], v[76:77], 2.0, v[106:107] op_sel_hi:[1,0,1] neg_lo:[0,0,1] neg_hi:[0,0,1]
	global_store_dwordx2 v[66:67], v[76:77], off
	v_pk_fma_f32 v[76:77], v[114:115], 2.0, v[122:123] op_sel_hi:[1,0,1] neg_lo:[0,0,1] neg_hi:[0,0,1]
	v_pk_fma_f32 v[112:113], v[112:113], 2.0, v[120:121] op_sel_hi:[1,0,1] neg_lo:[0,0,1] neg_hi:[0,0,1]
	v_pk_mul_f32 v[108:109], v[76:77], s[0:1] op_sel_hi:[1,0]
	v_pk_fma_f32 v[76:77], v[76:77], s[0:1], v[112:113] op_sel_hi:[1,0,1] neg_lo:[1,0,0] neg_hi:[1,0,0]
	v_lshl_add_u64 v[98:99], v[18:19], 0, v[54:55]
	v_pk_add_f32 v[114:115], v[76:77], v[108:109] op_sel:[0,1] op_sel_hi:[1,0]
	v_pk_add_f32 v[76:77], v[76:77], v[108:109] op_sel:[0,1] op_sel_hi:[1,0] neg_lo:[0,1] neg_hi:[0,1]
	v_pk_add_f32 v[108:109], v[116:117], v[110:111] op_sel:[0,1] op_sel_hi:[1,0] neg_lo:[0,1] neg_hi:[0,1]
	v_mov_b32_e32 v115, v77
	v_pk_fma_f32 v[76:77], v[112:113], 2.0, v[114:115] op_sel_hi:[1,0,1] neg_lo:[0,0,1] neg_hi:[0,0,1]
	global_store_dwordx2 v[98:99], v[76:77], off
	v_pk_add_f32 v[98:99], v[116:117], v[110:111] op_sel:[0,1] op_sel_hi:[1,0]
	v_or_b32_e32 v54, 0x2000, v20
	v_mov_b32_e32 v99, v109
	v_lshl_add_u64 v[76:77], v[18:19], 0, v[54:55]
	v_pk_fma_f32 v[108:109], v[116:117], 2.0, v[98:99] op_sel_hi:[1,0,1] neg_lo:[0,0,1] neg_hi:[0,0,1]
	global_store_dwordx2 v[76:77], v[108:109], off
	v_pk_mul_f32 v[108:109], v[122:123], s[0:1] op_sel_hi:[1,0]
	v_pk_fma_f32 v[110:111], v[122:123], s[0:1], v[120:121] op_sel_hi:[1,0,1]
	v_or_b32_e32 v54, 0x3000, v20
	v_pk_add_f32 v[112:113], v[110:111], v[108:109] op_sel:[0,1] op_sel_hi:[1,0]
	v_pk_add_f32 v[108:109], v[110:111], v[108:109] op_sel:[0,1] op_sel_hi:[1,0] neg_lo:[0,1] neg_hi:[0,1]
	v_lshl_add_u64 v[76:77], v[18:19], 0, v[54:55]
	v_mov_b32_e32 v113, v109
	v_pk_fma_f32 v[108:109], v[120:121], 2.0, v[112:113] op_sel_hi:[1,0,1] neg_lo:[0,0,1] neg_hi:[0,0,1]
	v_or_b32_e32 v54, 0x4000, v20
	global_store_dwordx2 v[76:77], v[108:109], off
	v_lshl_add_u64 v[76:77], v[18:19], 0, v[54:55]
	v_or_b32_e32 v54, 0x5000, v20
	global_store_dwordx2 v[76:77], v[106:107], off
	v_lshl_add_u64 v[76:77], v[18:19], 0, v[54:55]
	;; [unrolled: 3-line block ×4, first 2 shown]
	v_mov_b32_e32 v54, v93
	global_store_dwordx2 v[76:77], v[112:113], off
	s_waitcnt vmcnt(12)
	v_pk_mul_f32 v[76:77], v[16:17], v[54:55] op_sel_hi:[1,0]
	v_mov_b32_e32 v54, v73
	v_pk_fma_f32 v[92:93], v[54:55], v[16:17], v[76:77] op_sel:[0,0,1] op_sel_hi:[1,1,0]
	v_pk_fma_f32 v[16:17], v[54:55], v[16:17], v[76:77] op_sel:[0,0,1] op_sel_hi:[0,1,0] neg_lo:[1,0,0] neg_hi:[1,0,0]
	v_mov_b32_e32 v16, v91
	v_mov_b32_e32 v93, v17
	s_waitcnt vmcnt(11)
	v_pk_mul_f32 v[16:17], v[96:97], v[16:17] op_sel_hi:[1,0]
	v_mov_b32_e32 v54, v75
	v_pk_fma_f32 v[72:73], v[54:55], v[96:97], v[16:17] op_sel:[0,0,1] op_sel_hi:[1,1,0]
	v_pk_fma_f32 v[16:17], v[54:55], v[96:97], v[16:17] op_sel:[0,0,1] op_sel_hi:[0,1,0] neg_lo:[1,0,0] neg_hi:[1,0,0]
	v_mov_b32_e32 v73, v17
	v_mov_b32_e32 v58, v89
	v_pk_add_f32 v[16:17], v[92:93], v[72:73] neg_lo:[0,1] neg_hi:[0,1]
	v_mov_b32_e32 v54, v71
	v_pk_mul_f32 v[72:73], v[102:103], v[58:59] op_sel_hi:[1,0]
	v_mov_b32_e32 v58, v83
	v_pk_fma_f32 v[74:75], v[54:55], v[102:103], v[72:73] op_sel:[0,0,1] op_sel_hi:[1,1,0]
	v_pk_fma_f32 v[70:71], v[54:55], v[102:103], v[72:73] op_sel:[0,0,1] op_sel_hi:[0,1,0] neg_lo:[1,0,0] neg_hi:[1,0,0]
	v_mov_b32_e32 v54, v87
	v_mov_b32_e32 v75, v71
	v_pk_mul_f32 v[70:71], v[100:101], v[54:55] op_sel_hi:[1,0]
	v_mov_b32_e32 v54, v69
	v_pk_fma_f32 v[88:89], v[54:55], v[100:101], v[70:71] op_sel:[0,0,1] op_sel_hi:[1,1,0]
	v_pk_fma_f32 v[68:69], v[54:55], v[100:101], v[70:71] op_sel:[0,0,1] op_sel_hi:[0,1,0] neg_lo:[1,0,0] neg_hi:[1,0,0]
	v_pk_add_f32 v[76:77], v[62:63], v[74:75] neg_lo:[0,1] neg_hi:[0,1]
	v_mov_b32_e32 v89, v69
	global_load_dwordx4 v[68:71], v[80:81], off offset:4048
	global_load_dwordx4 v[72:75], v[80:81], off offset:4032
	v_mov_b32_e32 v54, v85
	global_load_dwordx4 v[84:87], v[80:81], off offset:4064
	s_waitcnt vmcnt(11)
	v_pk_mul_f32 v[90:91], v[104:105], v[54:55] op_sel_hi:[1,0]
	v_mov_b32_e32 v54, v65
	v_pk_fma_f32 v[96:97], v[54:55], v[104:105], v[90:91] op_sel:[0,0,1] op_sel_hi:[1,1,0]
	v_pk_fma_f32 v[64:65], v[54:55], v[104:105], v[90:91] op_sel:[0,0,1] op_sel_hi:[0,1,0] neg_lo:[1,0,0] neg_hi:[1,0,0]
	v_mov_b32_e32 v54, v61
	v_pk_mul_f32 v[82:83], v[14:15], v[58:59] op_sel_hi:[1,0]
	v_mov_b32_e32 v97, v65
	v_pk_fma_f32 v[90:91], v[54:55], v[14:15], v[82:83] op_sel:[0,0,1] op_sel_hi:[1,1,0]
	v_pk_fma_f32 v[14:15], v[54:55], v[14:15], v[82:83] op_sel:[0,0,1] op_sel_hi:[0,1,0] neg_lo:[1,0,0] neg_hi:[1,0,0]
	v_mov_b32_e32 v54, v79
	global_load_dwordx2 v[78:79], v[80:81], off offset:4080
	v_mov_b32_e32 v14, v59
	v_pk_mul_f32 v[60:61], v[94:95], v[54:55] op_sel_hi:[1,0]
	v_mov_b32_e32 v54, v59
	v_mov_b32_e32 v91, v15
	v_pk_fma_f32 v[14:15], v[14:15], v[94:95], v[60:61] op_sel:[0,0,1] op_sel_hi:[1,1,0]
	v_pk_fma_f32 v[58:59], v[54:55], v[94:95], v[60:61] op_sel:[0,0,1] op_sel_hi:[0,1,0] neg_lo:[1,0,0] neg_hi:[1,0,0]
	v_mov_b32_e32 v15, v59
	v_pk_add_f32 v[64:65], v[88:89], v[96:97] neg_lo:[0,1] neg_hi:[0,1]
	v_pk_add_f32 v[14:15], v[90:91], v[14:15] neg_lo:[0,1] neg_hi:[0,1]
	v_pk_fma_f32 v[60:61], v[92:93], 2.0, v[16:17] op_sel_hi:[1,0,1] neg_lo:[0,0,1] neg_hi:[0,0,1]
	v_pk_add_f32 v[82:83], v[76:77], v[16:17] op_sel:[0,1] op_sel_hi:[1,0]
	v_pk_add_f32 v[16:17], v[76:77], v[16:17] op_sel:[0,1] op_sel_hi:[1,0] neg_lo:[0,1] neg_hi:[0,1]
	v_pk_fma_f32 v[80:81], v[88:89], 2.0, v[64:65] op_sel_hi:[1,0,1] neg_lo:[0,0,1] neg_hi:[0,0,1]
	v_mov_b32_e32 v83, v17
	v_pk_add_f32 v[16:17], v[14:15], v[64:65] op_sel:[0,1] op_sel_hi:[1,0]
	v_pk_add_f32 v[64:65], v[14:15], v[64:65] op_sel:[0,1] op_sel_hi:[1,0] neg_lo:[0,1] neg_hi:[0,1]
	v_pk_fma_f32 v[58:59], v[62:63], 2.0, v[76:77] op_sel_hi:[1,0,1] neg_lo:[0,0,1] neg_hi:[0,0,1]
	v_pk_fma_f32 v[62:63], v[90:91], 2.0, v[14:15] op_sel_hi:[1,0,1] neg_lo:[0,0,1] neg_hi:[0,0,1]
	v_mov_b32_e32 v17, v65
	v_pk_add_f32 v[60:61], v[58:59], v[60:61] neg_lo:[0,1] neg_hi:[0,1]
	v_pk_add_f32 v[80:81], v[62:63], v[80:81] neg_lo:[0,1] neg_hi:[0,1]
	v_pk_fma_f32 v[14:15], v[14:15], 2.0, v[16:17] op_sel_hi:[1,0,1] neg_lo:[0,0,1] neg_hi:[0,0,1]
	v_pk_fma_f32 v[76:77], v[76:77], 2.0, v[82:83] op_sel_hi:[1,0,1] neg_lo:[0,0,1] neg_hi:[0,0,1]
	;; [unrolled: 1-line block ×4, first 2 shown]
	v_pk_mul_f32 v[64:65], v[14:15], s[0:1] op_sel_hi:[1,0]
	v_pk_fma_f32 v[14:15], v[14:15], s[0:1], v[76:77] op_sel_hi:[1,0,1] neg_lo:[1,0,0] neg_hi:[1,0,0]
	v_pk_add_f32 v[62:63], v[58:59], v[62:63] neg_lo:[0,1] neg_hi:[0,1]
	v_pk_add_f32 v[88:89], v[14:15], v[64:65] op_sel:[0,1] op_sel_hi:[1,0]
	v_pk_add_f32 v[14:15], v[14:15], v[64:65] op_sel:[0,1] op_sel_hi:[1,0] neg_lo:[0,1] neg_hi:[0,1]
	v_pk_fma_f32 v[58:59], v[58:59], 2.0, v[62:63] op_sel_hi:[1,0,1] neg_lo:[0,0,1] neg_hi:[0,0,1]
	v_or_b32_e32 v54, 0x1400, v20
	v_mov_b32_e32 v89, v15
	global_store_dwordx2 v[66:67], v[58:59], off offset:1024
	v_lshl_add_u64 v[58:59], v[18:19], 0, v[54:55]
	v_pk_fma_f32 v[14:15], v[76:77], 2.0, v[88:89] op_sel_hi:[1,0,1] neg_lo:[0,0,1] neg_hi:[0,0,1]
	global_store_dwordx2 v[58:59], v[14:15], off
	v_pk_add_f32 v[58:59], v[60:61], v[80:81] op_sel:[0,1] op_sel_hi:[1,0]
	v_pk_add_f32 v[64:65], v[60:61], v[80:81] op_sel:[0,1] op_sel_hi:[1,0] neg_lo:[0,1] neg_hi:[0,1]
	v_or_b32_e32 v54, 0x2400, v20
	v_mov_b32_e32 v59, v65
	v_lshl_add_u64 v[14:15], v[18:19], 0, v[54:55]
	v_pk_fma_f32 v[60:61], v[60:61], 2.0, v[58:59] op_sel_hi:[1,0,1] neg_lo:[0,0,1] neg_hi:[0,0,1]
	global_store_dwordx2 v[14:15], v[60:61], off
	v_pk_mul_f32 v[60:61], v[16:17], s[0:1] op_sel_hi:[1,0]
	v_pk_fma_f32 v[16:17], v[16:17], s[0:1], v[82:83] op_sel_hi:[1,0,1]
	v_or_b32_e32 v54, 0x3400, v20
	v_pk_add_f32 v[64:65], v[16:17], v[60:61] op_sel:[0,1] op_sel_hi:[1,0]
	v_pk_add_f32 v[16:17], v[16:17], v[60:61] op_sel:[0,1] op_sel_hi:[1,0] neg_lo:[0,1] neg_hi:[0,1]
	v_lshl_add_u64 v[14:15], v[18:19], 0, v[54:55]
	v_mov_b32_e32 v65, v17
	v_pk_fma_f32 v[16:17], v[82:83], 2.0, v[64:65] op_sel_hi:[1,0,1] neg_lo:[0,0,1] neg_hi:[0,0,1]
	v_or_b32_e32 v54, 0x4400, v20
	global_store_dwordx2 v[14:15], v[16:17], off
	v_lshl_add_u64 v[14:15], v[18:19], 0, v[54:55]
	v_or_b32_e32 v54, 0x5400, v20
	global_store_dwordx2 v[14:15], v[62:63], off
	v_lshl_add_u64 v[14:15], v[18:19], 0, v[54:55]
	;; [unrolled: 3-line block ×4, first 2 shown]
	global_store_dwordx2 v[14:15], v[64:65], off
	v_or_b32_e32 v54, 0x1800, v20
	s_waitcnt vmcnt(10)
	v_pk_mul_f32 v[14:15], v[74:75], v[40:41] op_sel_hi:[1,0]
	s_nop 0
	v_pk_fma_f32 v[16:17], v[24:25], v[74:75], v[14:15] op_sel:[0,0,1] op_sel_hi:[1,1,0]
	v_pk_fma_f32 v[14:15], v[24:25], v[74:75], v[14:15] op_sel:[0,0,1] op_sel_hi:[0,1,0] neg_lo:[1,0,0] neg_hi:[1,0,0]
	v_mov_b32_e32 v17, v15
	s_waitcnt vmcnt(9)
	v_pk_mul_f32 v[14:15], v[86:87], v[56:57] op_sel_hi:[1,0]
	v_lshlrev_b32_e32 v24, 3, v0
	v_pk_fma_f32 v[58:59], v[36:37], v[86:87], v[14:15] op_sel:[0,0,1] op_sel_hi:[1,1,0]
	v_pk_fma_f32 v[14:15], v[36:37], v[86:87], v[14:15] op_sel:[0,0,1] op_sel_hi:[0,1,0] neg_lo:[1,0,0] neg_hi:[1,0,0]
	v_mov_b32_e32 v59, v15
	v_pk_add_f32 v[14:15], v[16:17], v[58:59] neg_lo:[0,1] neg_hi:[0,1]
	v_pk_mul_f32 v[58:59], v[70:71], v[48:49] op_sel_hi:[1,0]
	v_pk_fma_f32 v[16:17], v[16:17], 2.0, v[14:15] op_sel_hi:[1,0,1] neg_lo:[0,0,1] neg_hi:[0,0,1]
	v_pk_fma_f32 v[60:61], v[34:35], v[70:71], v[58:59] op_sel:[0,0,1] op_sel_hi:[1,1,0]
	v_pk_fma_f32 v[58:59], v[34:35], v[70:71], v[58:59] op_sel:[0,0,1] op_sel_hi:[0,1,0] neg_lo:[1,0,0] neg_hi:[1,0,0]
	v_mov_b32_e32 v61, v59
	v_pk_add_f32 v[58:59], v[38:39], v[60:61] neg_lo:[0,1] neg_hi:[0,1]
	v_pk_mul_f32 v[60:61], v[68:69], v[50:51] op_sel_hi:[1,0]
	v_pk_fma_f32 v[38:39], v[38:39], 2.0, v[58:59] op_sel_hi:[1,0,1] neg_lo:[0,0,1] neg_hi:[0,0,1]
	v_pk_fma_f32 v[62:63], v[32:33], v[68:69], v[60:61] op_sel:[0,0,1] op_sel_hi:[1,1,0]
	v_pk_fma_f32 v[60:61], v[32:33], v[68:69], v[60:61] op_sel:[0,0,1] op_sel_hi:[0,1,0] neg_lo:[1,0,0] neg_hi:[1,0,0]
	v_mov_b32_e32 v63, v61
	s_waitcnt vmcnt(8)
	v_pk_mul_f32 v[60:61], v[78:79], v[46:47] op_sel_hi:[1,0]
	v_pk_add_f32 v[16:17], v[38:39], v[16:17] neg_lo:[0,1] neg_hi:[0,1]
	v_pk_fma_f32 v[64:65], v[30:31], v[78:79], v[60:61] op_sel:[0,0,1] op_sel_hi:[1,1,0]
	v_pk_fma_f32 v[60:61], v[30:31], v[78:79], v[60:61] op_sel:[0,0,1] op_sel_hi:[0,1,0] neg_lo:[1,0,0] neg_hi:[1,0,0]
	v_mov_b32_e32 v65, v61
	v_pk_add_f32 v[60:61], v[62:63], v[64:65] neg_lo:[0,1] neg_hi:[0,1]
	v_pk_mul_f32 v[64:65], v[72:73], v[44:45] op_sel_hi:[1,0]
	v_pk_fma_f32 v[62:63], v[62:63], 2.0, v[60:61] op_sel_hi:[1,0,1] neg_lo:[0,0,1] neg_hi:[0,0,1]
	v_pk_fma_f32 v[68:69], v[26:27], v[72:73], v[64:65] op_sel:[0,0,1] op_sel_hi:[1,1,0]
	v_pk_fma_f32 v[64:65], v[26:27], v[72:73], v[64:65] op_sel:[0,0,1] op_sel_hi:[0,1,0] neg_lo:[1,0,0] neg_hi:[1,0,0]
	v_mov_b32_e32 v69, v65
	v_pk_mul_f32 v[64:65], v[84:85], v[42:43] op_sel_hi:[1,0]
	v_pk_fma_f32 v[38:39], v[38:39], 2.0, v[16:17] op_sel_hi:[1,0,1] neg_lo:[0,0,1] neg_hi:[0,0,1]
	v_pk_fma_f32 v[70:71], v[28:29], v[84:85], v[64:65] op_sel:[0,0,1] op_sel_hi:[1,1,0]
	v_pk_fma_f32 v[64:65], v[28:29], v[84:85], v[64:65] op_sel:[0,0,1] op_sel_hi:[0,1,0] neg_lo:[1,0,0] neg_hi:[1,0,0]
	v_mov_b32_e32 v71, v65
	v_pk_add_f32 v[64:65], v[68:69], v[70:71] neg_lo:[0,1] neg_hi:[0,1]
	v_pk_add_f32 v[70:71], v[58:59], v[14:15] op_sel:[0,1] op_sel_hi:[1,0]
	v_pk_add_f32 v[14:15], v[58:59], v[14:15] op_sel:[0,1] op_sel_hi:[1,0] neg_lo:[0,1] neg_hi:[0,1]
	v_pk_fma_f32 v[68:69], v[68:69], 2.0, v[64:65] op_sel_hi:[1,0,1] neg_lo:[0,0,1] neg_hi:[0,0,1]
	v_mov_b32_e32 v71, v15
	v_pk_add_f32 v[14:15], v[64:65], v[60:61] op_sel:[0,1] op_sel_hi:[1,0]
	v_pk_add_f32 v[60:61], v[64:65], v[60:61] op_sel:[0,1] op_sel_hi:[1,0] neg_lo:[0,1] neg_hi:[0,1]
	v_pk_add_f32 v[62:63], v[68:69], v[62:63] neg_lo:[0,1] neg_hi:[0,1]
	v_mov_b32_e32 v15, v61
	v_pk_fma_f32 v[60:61], v[64:65], 2.0, v[14:15] op_sel_hi:[1,0,1] neg_lo:[0,0,1] neg_hi:[0,0,1]
	v_pk_fma_f32 v[58:59], v[58:59], 2.0, v[70:71] op_sel_hi:[1,0,1] neg_lo:[0,0,1] neg_hi:[0,0,1]
	;; [unrolled: 1-line block ×3, first 2 shown]
	v_pk_mul_f32 v[64:65], v[60:61], s[0:1] op_sel_hi:[1,0]
	v_pk_fma_f32 v[60:61], v[60:61], s[0:1], v[58:59] op_sel_hi:[1,0,1] neg_lo:[1,0,0] neg_hi:[1,0,0]
	v_pk_add_f32 v[68:69], v[38:39], v[68:69] neg_lo:[0,1] neg_hi:[0,1]
	v_pk_add_f32 v[72:73], v[60:61], v[64:65] op_sel:[0,1] op_sel_hi:[1,0]
	v_pk_add_f32 v[60:61], v[60:61], v[64:65] op_sel:[0,1] op_sel_hi:[1,0] neg_lo:[0,1] neg_hi:[0,1]
	v_pk_fma_f32 v[38:39], v[38:39], 2.0, v[68:69] op_sel_hi:[1,0,1] neg_lo:[0,0,1] neg_hi:[0,0,1]
	v_mov_b32_e32 v73, v61
	global_store_dwordx2 v[66:67], v[38:39], off offset:2048
	v_lshl_add_u64 v[38:39], v[18:19], 0, v[54:55]
	v_pk_fma_f32 v[58:59], v[58:59], 2.0, v[72:73] op_sel_hi:[1,0,1] neg_lo:[0,0,1] neg_hi:[0,0,1]
	global_store_dwordx2 v[38:39], v[58:59], off
	v_pk_add_f32 v[58:59], v[16:17], v[62:63] op_sel:[0,1] op_sel_hi:[1,0]
	v_pk_add_f32 v[60:61], v[16:17], v[62:63] op_sel:[0,1] op_sel_hi:[1,0] neg_lo:[0,1] neg_hi:[0,1]
	v_or_b32_e32 v54, 0x2800, v20
	v_mov_b32_e32 v59, v61
	v_lshl_add_u64 v[38:39], v[18:19], 0, v[54:55]
	v_pk_fma_f32 v[16:17], v[16:17], 2.0, v[58:59] op_sel_hi:[1,0,1] neg_lo:[0,0,1] neg_hi:[0,0,1]
	global_store_dwordx2 v[38:39], v[16:17], off
	v_pk_mul_f32 v[38:39], v[14:15], s[0:1] op_sel_hi:[1,0]
	v_pk_fma_f32 v[14:15], v[14:15], s[0:1], v[70:71] op_sel_hi:[1,0,1]
	v_or_b32_e32 v54, 0x3800, v20
	v_pk_add_f32 v[60:61], v[14:15], v[38:39] op_sel:[0,1] op_sel_hi:[1,0]
	v_pk_add_f32 v[14:15], v[14:15], v[38:39] op_sel:[0,1] op_sel_hi:[1,0] neg_lo:[0,1] neg_hi:[0,1]
	v_lshl_add_u64 v[16:17], v[18:19], 0, v[54:55]
	v_mov_b32_e32 v61, v15
	v_pk_fma_f32 v[14:15], v[70:71], 2.0, v[60:61] op_sel_hi:[1,0,1] neg_lo:[0,0,1] neg_hi:[0,0,1]
	v_or_b32_e32 v54, 0x4800, v20
	global_store_dwordx2 v[16:17], v[14:15], off
	v_lshl_add_u64 v[14:15], v[18:19], 0, v[54:55]
	v_or_b32_e32 v54, 0x5800, v20
	global_store_dwordx2 v[14:15], v[68:69], off
	v_lshl_add_u64 v[14:15], v[18:19], 0, v[54:55]
	;; [unrolled: 3-line block ×4, first 2 shown]
	v_or_b32_e32 v54, 0x1c00, v24
	v_lshl_add_u64 v[0:1], v[18:19], 0, v[54:55]
	v_or_b32_e32 v54, 0x2c00, v20
	global_store_dwordx2 v[14:15], v[60:61], off
	v_lshl_add_u64 v[14:15], v[18:19], 0, v[54:55]
	v_or_b32_e32 v54, 0x3c00, v24
	v_lshl_add_u64 v[16:17], v[18:19], 0, v[54:55]
	v_or_b32_e32 v54, 0x4c00, v20
	;; [unrolled: 2-line block ×5, first 2 shown]
	v_lshl_add_u64 v[18:19], v[18:19], 0, v[54:55]
	v_mov_b32_e32 v55, v12
	v_mov_b32_e32 v48, v57
	;; [unrolled: 1-line block ×5, first 2 shown]
	v_pk_mul_f32 v[4:5], v[34:35], v[12:13]
	v_pk_mul_f32 v[12:13], v[12:13], v[48:49]
	v_mov_b32_e32 v26, v33
	v_mov_b32_e32 v33, v2
	;; [unrolled: 1-line block ×5, first 2 shown]
	v_pk_fma_f32 v[12:13], v[34:35], v[54:55], v[12:13]
	v_mov_b32_e32 v35, v6
	v_mov_b32_e32 v44, v51
	;; [unrolled: 1-line block ×4, first 2 shown]
	v_pk_mul_f32 v[30:31], v[28:29], v[2:3]
	v_pk_mul_f32 v[2:3], v[2:3], v[42:43]
	v_mov_b32_e32 v24, v41
	v_mov_b32_e32 v34, v10
	v_pk_mul_f32 v[10:11], v[26:27], v[6:7]
	v_pk_fma_f32 v[30:31], v[32:33], v[42:43], v[30:31] neg_lo:[0,0,1] neg_hi:[0,0,1]
	v_pk_mul_f32 v[6:7], v[6:7], v[44:45]
	v_pk_fma_f32 v[2:3], v[28:29], v[32:33], v[2:3]
	v_pk_mul_f32 v[32:33], v[8:9], v[24:25] op_sel_hi:[1,0]
	v_mov_b32_e32 v24, v25
	v_pk_fma_f32 v[10:11], v[34:35], v[44:45], v[10:11] neg_lo:[0,0,1] neg_hi:[0,0,1]
	v_pk_fma_f32 v[6:7], v[26:27], v[34:35], v[6:7]
	v_pk_fma_f32 v[34:35], v[24:25], v[8:9], v[32:33] op_sel:[0,0,1] op_sel_hi:[1,1,0]
	v_pk_fma_f32 v[8:9], v[24:25], v[8:9], v[32:33] op_sel:[0,0,1] op_sel_hi:[0,1,0] neg_lo:[1,0,0] neg_hi:[1,0,0]
	v_pk_fma_f32 v[4:5], v[54:55], v[48:49], v[4:5] neg_lo:[0,0,1] neg_hi:[0,0,1]
	v_mov_b32_e32 v35, v9
	v_mov_b32_e32 v8, v9
	;; [unrolled: 1-line block ×3, first 2 shown]
	v_pk_add_f32 v[4:5], v[8:9], v[4:5] neg_lo:[0,1] neg_hi:[0,1]
	v_mov_b32_e32 v8, v34
	v_mov_b32_e32 v9, v22
	v_pk_add_f32 v[30:31], v[10:11], v[30:31] neg_lo:[0,1] neg_hi:[0,1]
	v_pk_add_f32 v[2:3], v[6:7], v[2:3] neg_lo:[0,1] neg_hi:[0,1]
	;; [unrolled: 1-line block ×3, first 2 shown]
	v_pk_add_f32 v[26:27], v[30:31], v[2:3] op_sel:[0,1] op_sel_hi:[1,0]
	v_pk_add_f32 v[28:29], v[30:31], v[2:3] op_sel:[0,1] op_sel_hi:[1,0] neg_lo:[0,1] neg_hi:[0,1]
	v_pk_add_f32 v[12:13], v[4:5], v[8:9] op_sel:[0,1] op_sel_hi:[1,0]
	v_pk_add_f32 v[24:25], v[4:5], v[8:9] op_sel:[0,1] op_sel_hi:[1,0] neg_lo:[0,1] neg_hi:[0,1]
	v_mov_b32_e32 v27, v29
	v_mov_b32_e32 v13, v25
	v_pk_mul_f32 v[28:29], v[26:27], s[0:1] op_sel_hi:[1,0]
	v_pk_fma_f32 v[24:25], v[26:27], s[0:1], v[12:13] op_sel_hi:[1,0,1]
	s_nop 0
	v_pk_add_f32 v[32:33], v[24:25], v[28:29] op_sel:[0,1] op_sel_hi:[1,0]
	v_pk_add_f32 v[24:25], v[24:25], v[28:29] op_sel:[0,1] op_sel_hi:[1,0] neg_lo:[0,1] neg_hi:[0,1]
	v_mov_b32_e32 v28, v3
	v_mov_b32_e32 v24, v9
	;; [unrolled: 1-line block ×5, first 2 shown]
	v_pk_fma_f32 v[4:5], v[34:35], 2.0, v[8:9] op_sel_hi:[1,0,1] neg_lo:[0,0,1] neg_hi:[0,0,1]
	v_mov_b32_e32 v8, v7
	v_mov_b32_e32 v9, v11
	;; [unrolled: 1-line block ×5, first 2 shown]
	v_pk_fma_f32 v[22:23], v[22:23], 2.0, v[24:25] op_sel_hi:[1,0,1] neg_lo:[0,0,1] neg_hi:[0,0,1]
	v_pk_fma_f32 v[8:9], v[8:9], 2.0, v[28:29] op_sel_hi:[1,0,1] neg_lo:[0,0,1] neg_hi:[0,0,1]
	;; [unrolled: 1-line block ×3, first 2 shown]
	v_pk_add_f32 v[4:5], v[22:23], v[4:5] neg_lo:[0,1] neg_hi:[0,1]
	v_pk_add_f32 v[2:3], v[8:9], v[2:3] neg_lo:[0,1] neg_hi:[0,1]
	v_pk_fma_f32 v[6:7], v[22:23], 2.0, v[4:5] op_sel_hi:[1,0,1] neg_lo:[0,0,1] neg_hi:[0,0,1]
	v_pk_fma_f32 v[8:9], v[8:9], 2.0, v[2:3] op_sel_hi:[1,0,1] neg_lo:[0,0,1] neg_hi:[0,0,1]
	s_nop 0
	v_pk_add_f32 v[8:9], v[6:7], v[8:9] neg_lo:[0,1] neg_hi:[0,1]
	s_nop 0
	v_pk_fma_f32 v[6:7], v[6:7], 2.0, v[8:9] op_sel_hi:[1,0,1] neg_lo:[0,0,1] neg_hi:[0,0,1]
	global_store_dwordx2 v[66:67], v[6:7], off offset:3072
	v_pk_add_f32 v[6:7], v[4:5], v[2:3] op_sel:[0,1] op_sel_hi:[1,0]
	v_pk_add_f32 v[2:3], v[4:5], v[2:3] op_sel:[0,1] op_sel_hi:[1,0] neg_lo:[0,1] neg_hi:[0,1]
	s_nop 0
	v_mov_b32_e32 v7, v3
	v_pk_fma_f32 v[2:3], v[4:5], 2.0, v[6:7] op_sel_hi:[1,0,1] neg_lo:[0,0,1] neg_hi:[0,0,1]
	global_store_dwordx2 v[14:15], v[2:3], off
	v_pk_fma_f32 v[2:3], v[12:13], 2.0, v[32:33] op_sel_hi:[1,0,1] neg_lo:[0,0,1] neg_hi:[0,0,1]
	global_store_dwordx2 v[16:17], v[2:3], off
	global_store_dwordx2 v[38:39], v[8:9], off
	v_pk_fma_f32 v[2:3], v[28:29], 2.0, v[26:27] op_sel_hi:[1,0,1] neg_lo:[0,0,1] neg_hi:[0,0,1]
	v_pk_fma_f32 v[8:9], v[24:25], 2.0, v[12:13] op_sel_hi:[1,0,1] neg_lo:[0,0,1] neg_hi:[0,0,1]
	v_pk_mul_f32 v[4:5], v[2:3], s[0:1] op_sel_hi:[1,0]
	v_pk_fma_f32 v[2:3], v[2:3], s[0:1], v[8:9] op_sel_hi:[1,0,1] neg_lo:[1,0,0] neg_hi:[1,0,0]
	s_nop 0
	v_pk_add_f32 v[10:11], v[2:3], v[4:5] op_sel:[0,1] op_sel_hi:[1,0]
	v_pk_add_f32 v[2:3], v[2:3], v[4:5] op_sel:[0,1] op_sel_hi:[1,0] neg_lo:[0,1] neg_hi:[0,1]
	s_nop 0
	v_mov_b32_e32 v11, v3
	v_pk_fma_f32 v[2:3], v[8:9], 2.0, v[10:11] op_sel_hi:[1,0,1] neg_lo:[0,0,1] neg_hi:[0,0,1]
	global_store_dwordx2 v[0:1], v[2:3], off
	global_store_dwordx2 v[58:59], v[10:11], off
	;; [unrolled: 1-line block ×4, first 2 shown]
.LBB0_8:
	s_endpgm
	.section	.rodata,"a",@progbits
	.p2align	6, 0x0
	.amdhsa_kernel fft_rtc_back_len4096_factors_8_16_4_8_wgs_256_tpt_128_halfLds_dim2_sp_ip_CI_unitstride_sbrr_dirReg
		.amdhsa_group_segment_fixed_size 0
		.amdhsa_private_segment_fixed_size 0
		.amdhsa_kernarg_size 80
		.amdhsa_user_sgpr_count 2
		.amdhsa_user_sgpr_dispatch_ptr 0
		.amdhsa_user_sgpr_queue_ptr 0
		.amdhsa_user_sgpr_kernarg_segment_ptr 1
		.amdhsa_user_sgpr_dispatch_id 0
		.amdhsa_user_sgpr_kernarg_preload_length 0
		.amdhsa_user_sgpr_kernarg_preload_offset 0
		.amdhsa_user_sgpr_private_segment_size 0
		.amdhsa_uses_dynamic_stack 0
		.amdhsa_enable_private_segment 0
		.amdhsa_system_sgpr_workgroup_id_x 1
		.amdhsa_system_sgpr_workgroup_id_y 0
		.amdhsa_system_sgpr_workgroup_id_z 0
		.amdhsa_system_sgpr_workgroup_info 0
		.amdhsa_system_vgpr_workitem_id 0
		.amdhsa_next_free_vgpr 130
		.amdhsa_next_free_sgpr 14
		.amdhsa_accum_offset 132
		.amdhsa_reserve_vcc 1
		.amdhsa_float_round_mode_32 0
		.amdhsa_float_round_mode_16_64 0
		.amdhsa_float_denorm_mode_32 3
		.amdhsa_float_denorm_mode_16_64 3
		.amdhsa_dx10_clamp 1
		.amdhsa_ieee_mode 1
		.amdhsa_fp16_overflow 0
		.amdhsa_tg_split 0
		.amdhsa_exception_fp_ieee_invalid_op 0
		.amdhsa_exception_fp_denorm_src 0
		.amdhsa_exception_fp_ieee_div_zero 0
		.amdhsa_exception_fp_ieee_overflow 0
		.amdhsa_exception_fp_ieee_underflow 0
		.amdhsa_exception_fp_ieee_inexact 0
		.amdhsa_exception_int_div_zero 0
	.end_amdhsa_kernel
	.text
.Lfunc_end0:
	.size	fft_rtc_back_len4096_factors_8_16_4_8_wgs_256_tpt_128_halfLds_dim2_sp_ip_CI_unitstride_sbrr_dirReg, .Lfunc_end0-fft_rtc_back_len4096_factors_8_16_4_8_wgs_256_tpt_128_halfLds_dim2_sp_ip_CI_unitstride_sbrr_dirReg
                                        ; -- End function
	.section	.AMDGPU.csdata,"",@progbits
; Kernel info:
; codeLenInByte = 12284
; NumSgprs: 20
; NumVgprs: 130
; NumAgprs: 0
; TotalNumVgprs: 130
; ScratchSize: 0
; MemoryBound: 0
; FloatMode: 240
; IeeeMode: 1
; LDSByteSize: 0 bytes/workgroup (compile time only)
; SGPRBlocks: 2
; VGPRBlocks: 16
; NumSGPRsForWavesPerEU: 20
; NumVGPRsForWavesPerEU: 130
; AccumOffset: 132
; Occupancy: 3
; WaveLimiterHint : 1
; COMPUTE_PGM_RSRC2:SCRATCH_EN: 0
; COMPUTE_PGM_RSRC2:USER_SGPR: 2
; COMPUTE_PGM_RSRC2:TRAP_HANDLER: 0
; COMPUTE_PGM_RSRC2:TGID_X_EN: 1
; COMPUTE_PGM_RSRC2:TGID_Y_EN: 0
; COMPUTE_PGM_RSRC2:TGID_Z_EN: 0
; COMPUTE_PGM_RSRC2:TIDIG_COMP_CNT: 0
; COMPUTE_PGM_RSRC3_GFX90A:ACCUM_OFFSET: 32
; COMPUTE_PGM_RSRC3_GFX90A:TG_SPLIT: 0
	.text
	.p2alignl 6, 3212836864
	.fill 256, 4, 3212836864
	.type	__hip_cuid_e88a75898d4cef2,@object ; @__hip_cuid_e88a75898d4cef2
	.section	.bss,"aw",@nobits
	.globl	__hip_cuid_e88a75898d4cef2
__hip_cuid_e88a75898d4cef2:
	.byte	0                               ; 0x0
	.size	__hip_cuid_e88a75898d4cef2, 1

	.ident	"AMD clang version 19.0.0git (https://github.com/RadeonOpenCompute/llvm-project roc-6.4.0 25133 c7fe45cf4b819c5991fe208aaa96edf142730f1d)"
	.section	".note.GNU-stack","",@progbits
	.addrsig
	.addrsig_sym __hip_cuid_e88a75898d4cef2
	.amdgpu_metadata
---
amdhsa.kernels:
  - .agpr_count:     0
    .args:
      - .actual_access:  read_only
        .address_space:  global
        .offset:         0
        .size:           8
        .value_kind:     global_buffer
      - .actual_access:  read_only
        .address_space:  global
        .offset:         8
        .size:           8
        .value_kind:     global_buffer
      - .actual_access:  read_only
        .address_space:  global
        .offset:         16
        .size:           8
        .value_kind:     global_buffer
      - .offset:         24
        .size:           8
        .value_kind:     by_value
      - .actual_access:  read_only
        .address_space:  global
        .offset:         32
        .size:           8
        .value_kind:     global_buffer
      - .actual_access:  read_only
        .address_space:  global
        .offset:         40
        .size:           8
        .value_kind:     global_buffer
      - .offset:         48
        .size:           4
        .value_kind:     by_value
      - .actual_access:  read_only
        .address_space:  global
        .offset:         56
        .size:           8
        .value_kind:     global_buffer
      - .actual_access:  read_only
        .address_space:  global
        .offset:         64
        .size:           8
        .value_kind:     global_buffer
      - .address_space:  global
        .offset:         72
        .size:           8
        .value_kind:     global_buffer
    .group_segment_fixed_size: 0
    .kernarg_segment_align: 8
    .kernarg_segment_size: 80
    .language:       OpenCL C
    .language_version:
      - 2
      - 0
    .max_flat_workgroup_size: 256
    .name:           fft_rtc_back_len4096_factors_8_16_4_8_wgs_256_tpt_128_halfLds_dim2_sp_ip_CI_unitstride_sbrr_dirReg
    .private_segment_fixed_size: 0
    .sgpr_count:     20
    .sgpr_spill_count: 0
    .symbol:         fft_rtc_back_len4096_factors_8_16_4_8_wgs_256_tpt_128_halfLds_dim2_sp_ip_CI_unitstride_sbrr_dirReg.kd
    .uniform_work_group_size: 1
    .uses_dynamic_stack: false
    .vgpr_count:     130
    .vgpr_spill_count: 0
    .wavefront_size: 64
amdhsa.target:   amdgcn-amd-amdhsa--gfx950
amdhsa.version:
  - 1
  - 2
...

	.end_amdgpu_metadata
